;; amdgpu-corpus repo=ROCm/rocFFT kind=compiled arch=gfx950 opt=O3
	.text
	.amdgcn_target "amdgcn-amd-amdhsa--gfx950"
	.amdhsa_code_object_version 6
	.protected	fft_rtc_fwd_len121_factors_11_11_wgs_121_tpt_11_dp_op_CI_CI_sbcc_twdbase8_3step ; -- Begin function fft_rtc_fwd_len121_factors_11_11_wgs_121_tpt_11_dp_op_CI_CI_sbcc_twdbase8_3step
	.globl	fft_rtc_fwd_len121_factors_11_11_wgs_121_tpt_11_dp_op_CI_CI_sbcc_twdbase8_3step
	.p2align	8
	.type	fft_rtc_fwd_len121_factors_11_11_wgs_121_tpt_11_dp_op_CI_CI_sbcc_twdbase8_3step,@function
fft_rtc_fwd_len121_factors_11_11_wgs_121_tpt_11_dp_op_CI_CI_sbcc_twdbase8_3step: ; @fft_rtc_fwd_len121_factors_11_11_wgs_121_tpt_11_dp_op_CI_CI_sbcc_twdbase8_3step
; %bb.0:
	s_load_dwordx4 s[20:23], s[0:1], 0x18
	s_load_dwordx2 s[36:37], s[0:1], 0x28
	s_mov_b32 s3, 0
	s_mov_b64 s[26:27], 0
	s_waitcnt lgkmcnt(0)
	s_load_dwordx2 s[34:35], s[20:21], 0x8
	s_waitcnt lgkmcnt(0)
	s_add_u32 s4, s34, -1
	s_addc_u32 s5, s35, -1
	s_add_u32 s6, 0, 0x5d161400
	s_addc_u32 s7, 0, 0x54
	s_mul_hi_u32 s9, s6, -11
	s_add_i32 s7, s7, 0x1745d120
	s_sub_i32 s9, s9, s6
	s_mul_i32 s12, s7, -11
	s_mul_i32 s8, s6, -11
	s_add_i32 s9, s9, s12
	s_mul_hi_u32 s10, s7, s8
	s_mul_i32 s11, s7, s8
	s_mul_i32 s13, s6, s9
	s_mul_hi_u32 s8, s6, s8
	s_mul_hi_u32 s12, s6, s9
	s_add_u32 s8, s8, s13
	s_addc_u32 s12, 0, s12
	s_add_u32 s8, s8, s11
	s_mul_hi_u32 s13, s7, s9
	s_addc_u32 s8, s12, s10
	s_addc_u32 s10, s13, 0
	s_mul_i32 s9, s7, s9
	s_add_u32 s8, s8, s9
	v_mov_b32_e32 v1, s8
	s_addc_u32 s9, 0, s10
	v_add_co_u32_e32 v1, vcc, s6, v1
	s_cmp_lg_u64 vcc, 0
	s_addc_u32 s6, s7, s9
	v_readfirstlane_b32 s9, v1
	s_mul_i32 s8, s4, s6
	s_mul_hi_u32 s10, s4, s9
	s_mul_hi_u32 s7, s4, s6
	s_add_u32 s8, s10, s8
	s_addc_u32 s7, 0, s7
	s_mul_hi_u32 s11, s5, s9
	s_mul_i32 s9, s5, s9
	s_add_u32 s8, s8, s9
	s_mul_hi_u32 s10, s5, s6
	s_addc_u32 s7, s7, s11
	s_addc_u32 s8, s10, 0
	s_mul_i32 s6, s5, s6
	s_add_u32 s6, s7, s6
	s_addc_u32 s7, 0, s8
	s_add_u32 s8, s6, 1
	s_addc_u32 s9, s7, 0
	s_add_u32 s10, s6, 2
	s_mul_i32 s12, s7, 11
	s_mul_hi_u32 s13, s6, 11
	s_addc_u32 s11, s7, 0
	s_add_i32 s13, s13, s12
	s_mul_i32 s12, s6, 11
	v_mov_b32_e32 v1, s12
	v_sub_co_u32_e32 v1, vcc, s4, v1
	s_cmp_lg_u64 vcc, 0
	s_subb_u32 s4, s5, s13
	v_subrev_co_u32_e32 v2, vcc, 11, v1
	s_cmp_lg_u64 vcc, 0
	s_subb_u32 s5, s4, 0
	v_readfirstlane_b32 s12, v2
	s_cmp_gt_u32 s12, 10
	s_cselect_b32 s12, -1, 0
	s_cmp_eq_u32 s5, 0
	s_cselect_b32 s5, s12, -1
	s_cmp_lg_u32 s5, 0
	s_cselect_b32 s5, s10, s8
	s_cselect_b32 s8, s11, s9
	v_readfirstlane_b32 s9, v1
	s_cmp_gt_u32 s9, 10
	s_cselect_b32 s9, -1, 0
	s_cmp_eq_u32 s4, 0
	s_cselect_b32 s4, s9, -1
	s_cmp_lg_u32 s4, 0
	s_cselect_b32 s5, s5, s6
	s_cselect_b32 s4, s8, s7
	s_add_u32 s40, s5, 1
	s_addc_u32 s41, s4, 0
	v_mov_b64_e32 v[2:3], s[40:41]
	v_cmp_lt_u64_e32 vcc, s[2:3], v[2:3]
	s_cbranch_vccnz .LBB0_2
; %bb.1:
	v_cvt_f32_u32_e32 v1, s40
	s_sub_i32 s4, 0, s40
	s_mov_b32 s27, s3
	v_rcp_iflag_f32_e32 v1, v1
	s_nop 0
	v_mul_f32_e32 v1, 0x4f7ffffe, v1
	v_cvt_u32_f32_e32 v1, v1
	s_nop 0
	v_readfirstlane_b32 s5, v1
	s_mul_i32 s4, s4, s5
	s_mul_hi_u32 s4, s5, s4
	s_add_i32 s5, s5, s4
	s_mul_hi_u32 s4, s2, s5
	s_mul_i32 s6, s4, s40
	s_sub_i32 s6, s2, s6
	s_add_i32 s5, s4, 1
	s_sub_i32 s7, s6, s40
	s_cmp_ge_u32 s6, s40
	s_cselect_b32 s4, s5, s4
	s_cselect_b32 s6, s7, s6
	s_add_i32 s5, s4, 1
	s_cmp_ge_u32 s6, s40
	s_cselect_b32 s26, s5, s4
.LBB0_2:
	s_load_dwordx4 s[8:11], s[0:1], 0x60
	s_load_dwordx4 s[16:19], s[22:23], 0x0
	;; [unrolled: 1-line block ×3, first 2 shown]
	s_load_dwordx2 s[30:31], s[0:1], 0x0
	s_load_dwordx4 s[12:15], s[0:1], 0x8
	s_mul_i32 s0, s26, s41
	s_mul_hi_u32 s1, s26, s40
	s_add_i32 s1, s1, s0
	s_mul_i32 s0, s26, s40
	s_sub_u32 s0, s2, s0
	s_subb_u32 s1, 0, s1
	s_mul_i32 s1, s1, 11
	s_mul_hi_u32 s24, s0, 11
	s_add_i32 s29, s24, s1
	s_mul_i32 s28, s0, 11
	s_waitcnt lgkmcnt(0)
	s_mul_i32 s0, s18, s29
	s_mul_hi_u32 s1, s18, s28
	s_add_i32 s0, s1, s0
	s_mul_i32 s1, s19, s28
	s_add_i32 s39, s0, s1
	s_mul_i32 s0, s6, s29
	s_mul_hi_u32 s1, s6, s28
	s_add_i32 s0, s1, s0
	s_mul_i32 s1, s7, s28
	s_add_i32 s25, s0, s1
	v_cmp_lt_u64_e64 s[0:1], s[14:15], 3
	s_mul_i32 s38, s18, s28
	s_mul_i32 s24, s6, s28
	s_and_b64 vcc, exec, s[0:1]
	s_cbranch_vccnz .LBB0_12
; %bb.3:
	s_add_u32 s42, s36, 16
	s_addc_u32 s43, s37, 0
	s_add_u32 s44, s22, 16
	s_addc_u32 s45, s23, 0
	;; [unrolled: 2-line block ×3, first 2 shown]
	s_mov_b64 s[46:47], 2
	s_mov_b32 s48, 0
	v_mov_b64_e32 v[2:3], s[14:15]
.LBB0_4:                                ; =>This Inner Loop Header: Depth=1
	s_load_dwordx2 s[50:51], s[20:21], 0x0
	s_waitcnt lgkmcnt(0)
	s_or_b64 s[0:1], s[26:27], s[50:51]
	s_mov_b32 s49, s1
	s_cmp_lg_u64 s[48:49], 0
	s_cbranch_scc0 .LBB0_9
; %bb.5:                                ;   in Loop: Header=BB0_4 Depth=1
	v_cvt_f32_u32_e32 v1, s50
	v_cvt_f32_u32_e32 v4, s51
	s_sub_u32 s0, 0, s50
	s_subb_u32 s1, 0, s51
	v_fmac_f32_e32 v1, 0x4f800000, v4
	v_rcp_f32_e32 v1, v1
	s_nop 0
	v_mul_f32_e32 v1, 0x5f7ffffc, v1
	v_mul_f32_e32 v4, 0x2f800000, v1
	v_trunc_f32_e32 v4, v4
	v_fmac_f32_e32 v1, 0xcf800000, v4
	v_cvt_u32_f32_e32 v4, v4
	v_cvt_u32_f32_e32 v1, v1
	v_readfirstlane_b32 s33, v4
	v_readfirstlane_b32 s49, v1
	s_mul_i32 s52, s0, s33
	s_mul_hi_u32 s54, s0, s49
	s_mul_i32 s53, s1, s49
	s_add_i32 s52, s54, s52
	s_mul_i32 s55, s0, s49
	s_add_i32 s52, s52, s53
	s_mul_hi_u32 s53, s49, s52
	s_mul_i32 s54, s49, s52
	s_mul_hi_u32 s49, s49, s55
	s_add_u32 s49, s49, s54
	s_addc_u32 s53, 0, s53
	s_mul_hi_u32 s56, s33, s55
	s_mul_i32 s55, s33, s55
	s_add_u32 s49, s49, s55
	s_mul_hi_u32 s54, s33, s52
	s_addc_u32 s49, s53, s56
	s_addc_u32 s53, s54, 0
	s_mul_i32 s52, s33, s52
	s_add_u32 s49, s49, s52
	s_addc_u32 s52, 0, s53
	v_add_co_u32_e32 v1, vcc, s49, v1
	s_cmp_lg_u64 vcc, 0
	s_addc_u32 s33, s33, s52
	v_readfirstlane_b32 s52, v1
	s_mul_i32 s49, s0, s33
	s_mul_hi_u32 s53, s0, s52
	s_add_i32 s49, s53, s49
	s_mul_i32 s1, s1, s52
	s_add_i32 s49, s49, s1
	s_mul_i32 s0, s0, s52
	s_mul_hi_u32 s53, s33, s0
	s_mul_i32 s54, s33, s0
	s_mul_i32 s56, s52, s49
	s_mul_hi_u32 s0, s52, s0
	s_mul_hi_u32 s55, s52, s49
	s_add_u32 s0, s0, s56
	s_addc_u32 s52, 0, s55
	s_add_u32 s0, s0, s54
	s_mul_hi_u32 s1, s33, s49
	s_addc_u32 s0, s52, s53
	s_addc_u32 s1, s1, 0
	s_mul_i32 s49, s33, s49
	s_add_u32 s0, s0, s49
	s_addc_u32 s1, 0, s1
	v_add_co_u32_e32 v1, vcc, s0, v1
	s_cmp_lg_u64 vcc, 0
	s_addc_u32 s0, s33, s1
	v_readfirstlane_b32 s49, v1
	s_mul_i32 s33, s26, s0
	s_mul_hi_u32 s52, s26, s49
	s_mul_hi_u32 s1, s26, s0
	s_add_u32 s33, s52, s33
	s_addc_u32 s1, 0, s1
	s_mul_hi_u32 s53, s27, s49
	s_mul_i32 s49, s27, s49
	s_add_u32 s33, s33, s49
	s_mul_hi_u32 s52, s27, s0
	s_addc_u32 s1, s1, s53
	s_addc_u32 s33, s52, 0
	s_mul_i32 s0, s27, s0
	s_add_u32 s49, s1, s0
	s_addc_u32 s33, 0, s33
	s_mul_i32 s0, s50, s33
	s_mul_hi_u32 s1, s50, s49
	s_add_i32 s0, s1, s0
	s_mul_i32 s1, s51, s49
	s_add_i32 s52, s0, s1
	s_mul_i32 s1, s50, s49
	v_mov_b32_e32 v1, s1
	s_sub_i32 s0, s27, s52
	v_sub_co_u32_e32 v1, vcc, s26, v1
	s_cmp_lg_u64 vcc, 0
	s_subb_u32 s53, s0, s51
	v_subrev_co_u32_e64 v4, s[0:1], s50, v1
	s_cmp_lg_u64 s[0:1], 0
	s_subb_u32 s0, s53, 0
	s_cmp_ge_u32 s0, s51
	v_readfirstlane_b32 s53, v4
	s_cselect_b32 s1, -1, 0
	s_cmp_ge_u32 s53, s50
	s_cselect_b32 s53, -1, 0
	s_cmp_eq_u32 s0, s51
	s_cselect_b32 s0, s53, s1
	s_add_u32 s1, s49, 1
	s_addc_u32 s53, s33, 0
	s_add_u32 s54, s49, 2
	s_addc_u32 s55, s33, 0
	s_cmp_lg_u32 s0, 0
	s_cselect_b32 s0, s54, s1
	s_cselect_b32 s1, s55, s53
	s_cmp_lg_u64 vcc, 0
	s_subb_u32 s52, s27, s52
	s_cmp_ge_u32 s52, s51
	v_readfirstlane_b32 s54, v1
	s_cselect_b32 s53, -1, 0
	s_cmp_ge_u32 s54, s50
	s_cselect_b32 s54, -1, 0
	s_cmp_eq_u32 s52, s51
	s_cselect_b32 s52, s54, s53
	s_cmp_lg_u32 s52, 0
	s_cselect_b32 s1, s1, s33
	s_cselect_b32 s0, s0, s49
	s_cbranch_execnz .LBB0_7
.LBB0_6:                                ;   in Loop: Header=BB0_4 Depth=1
	v_cvt_f32_u32_e32 v1, s50
	s_sub_i32 s0, 0, s50
	v_rcp_iflag_f32_e32 v1, v1
	s_nop 0
	v_mul_f32_e32 v1, 0x4f7ffffe, v1
	v_cvt_u32_f32_e32 v1, v1
	s_nop 0
	v_readfirstlane_b32 s1, v1
	s_mul_i32 s0, s0, s1
	s_mul_hi_u32 s0, s1, s0
	s_add_i32 s1, s1, s0
	s_mul_hi_u32 s0, s26, s1
	s_mul_i32 s33, s0, s50
	s_sub_i32 s33, s26, s33
	s_add_i32 s1, s0, 1
	s_sub_i32 s49, s33, s50
	s_cmp_ge_u32 s33, s50
	s_cselect_b32 s0, s1, s0
	s_cselect_b32 s33, s49, s33
	s_add_i32 s1, s0, 1
	s_cmp_ge_u32 s33, s50
	s_cselect_b32 s0, s1, s0
	s_mov_b32 s1, s48
.LBB0_7:                                ;   in Loop: Header=BB0_4 Depth=1
	s_mul_i32 s33, s50, s41
	s_mul_hi_u32 s41, s50, s40
	s_add_i32 s33, s41, s33
	s_mul_i32 s41, s51, s40
	s_add_i32 s41, s33, s41
	s_mul_i32 s33, s0, s51
	s_mul_hi_u32 s49, s0, s50
	s_load_dwordx2 s[52:53], s[44:45], 0x0
	s_add_i32 s33, s49, s33
	s_mul_i32 s49, s1, s50
	s_add_i32 s33, s33, s49
	s_mul_i32 s49, s0, s50
	s_sub_u32 s49, s26, s49
	s_subb_u32 s33, s27, s33
	s_waitcnt lgkmcnt(0)
	s_mul_i32 s26, s52, s33
	s_mul_hi_u32 s27, s52, s49
	s_mul_i32 s40, s50, s40
	s_add_i32 s50, s27, s26
	s_load_dwordx2 s[26:27], s[42:43], 0x0
	s_mul_i32 s51, s53, s49
	s_add_i32 s50, s50, s51
	s_mul_i32 s51, s52, s49
	s_add_u32 s38, s51, s38
	s_addc_u32 s39, s50, s39
	s_waitcnt lgkmcnt(0)
	s_mul_i32 s33, s26, s33
	s_mul_hi_u32 s50, s26, s49
	s_add_i32 s33, s50, s33
	s_mul_i32 s27, s27, s49
	s_add_i32 s33, s33, s27
	s_mul_i32 s26, s26, s49
	s_add_u32 s24, s26, s24
	s_addc_u32 s25, s33, s25
	s_add_u32 s46, s46, 1
	s_addc_u32 s47, s47, 0
	;; [unrolled: 2-line block ×4, first 2 shown]
	s_add_u32 s20, s20, 8
	v_cmp_ge_u64_e32 vcc, s[46:47], v[2:3]
	s_addc_u32 s21, s21, 0
	s_cbranch_vccnz .LBB0_10
; %bb.8:                                ;   in Loop: Header=BB0_4 Depth=1
	s_mov_b64 s[26:27], s[0:1]
	s_branch .LBB0_4
.LBB0_9:                                ;   in Loop: Header=BB0_4 Depth=1
                                        ; implicit-def: $sgpr0_sgpr1
	s_branch .LBB0_6
.LBB0_10:
	v_mov_b64_e32 v[2:3], s[40:41]
	v_cmp_lt_u64_e32 vcc, s[2:3], v[2:3]
	s_mov_b64 s[26:27], 0
	s_cbranch_vccnz .LBB0_12
; %bb.11:
	v_cvt_f32_u32_e32 v1, s40
	s_sub_i32 s0, 0, s40
	v_rcp_iflag_f32_e32 v1, v1
	s_nop 0
	v_mul_f32_e32 v1, 0x4f7ffffe, v1
	v_cvt_u32_f32_e32 v1, v1
	s_nop 0
	v_readfirstlane_b32 s1, v1
	s_mul_i32 s0, s0, s1
	s_mul_hi_u32 s0, s1, s0
	s_add_i32 s1, s1, s0
	s_mul_hi_u32 s0, s2, s1
	s_mul_i32 s3, s0, s40
	s_sub_i32 s2, s2, s3
	s_add_i32 s1, s0, 1
	s_sub_i32 s3, s2, s40
	s_cmp_ge_u32 s2, s40
	s_cselect_b32 s0, s1, s0
	s_cselect_b32 s2, s3, s2
	s_add_i32 s1, s0, 1
	s_cmp_ge_u32 s2, s40
	s_cselect_b32 s26, s1, s0
.LBB0_12:
	s_lshl_b64 s[20:21], s[14:15], 3
	v_mul_u32_u24_e32 v1, 0x1746, v0
	s_add_u32 s2, s36, s20
	v_lshrrev_b32_e32 v52, 16, v1
	s_addc_u32 s3, s37, s21
	s_mov_b32 s14, 0
	v_mul_lo_u16_e32 v1, 11, v52
	s_add_u32 s0, s28, 11
	v_sub_u16_e32 v54, v0, v1
	v_mov_b32_e32 v55, s14
	s_addc_u32 s1, s29, 0
	v_mov_b64_e32 v[2:3], s[34:35]
	v_lshl_add_u64 v[0:1], s[28:29], 0, v[54:55]
	v_cmp_le_u64_e32 vcc, s[0:1], v[2:3]
	v_cmp_gt_u64_e64 s[0:1], s[34:35], v[0:1]
	v_mov_b32_e32 v53, 0
	s_or_b64 s[0:1], vcc, s[0:1]
	v_lshlrev_b32_e32 v92, 4, v52
	v_add_u32_e32 v91, 11, v52
	v_add_u32_e32 v90, 22, v52
	;; [unrolled: 1-line block ×5, first 2 shown]
	s_and_saveexec_b64 s[14:15], s[0:1]
	s_cbranch_execz .LBB0_14
; %bb.13:
	s_add_u32 s20, s22, s20
	s_addc_u32 s21, s23, s21
	s_load_dwordx2 s[20:21], s[20:21], 0x0
	v_mad_u64_u32 v[0:1], s[22:23], s18, v54, 0
	v_mov_b32_e32 v2, v1
	s_waitcnt lgkmcnt(0)
	s_mul_i32 s18, s21, s26
	s_mul_hi_u32 s21, s20, s26
	s_add_i32 s21, s21, s18
	v_mad_u64_u32 v[2:3], s[18:19], s19, v54, v[2:3]
	v_mov_b32_e32 v1, v2
	v_mad_u64_u32 v[2:3], s[18:19], s16, v52, 0
	v_mov_b32_e32 v4, v3
	s_mul_i32 s20, s20, s26
	v_mad_u64_u32 v[4:5], s[18:19], s17, v52, v[4:5]
	s_lshl_b64 s[18:19], s[20:21], 4
	s_add_u32 s18, s8, s18
	s_addc_u32 s19, s9, s19
	s_lshl_b64 s[8:9], s[38:39], 4
	s_add_u32 s8, s18, s8
	s_addc_u32 s9, s19, s9
	v_mov_b32_e32 v3, v4
	v_lshl_add_u64 v[40:41], v[0:1], 4, s[8:9]
	v_mad_u64_u32 v[0:1], s[8:9], s16, v91, 0
	v_lshl_add_u64 v[8:9], v[2:3], 4, v[40:41]
	v_mov_b32_e32 v2, v1
	v_mad_u64_u32 v[2:3], s[8:9], s17, v91, v[2:3]
	v_mov_b32_e32 v1, v2
	v_lshl_add_u64 v[10:11], v[0:1], 4, v[40:41]
	global_load_dwordx4 v[0:3], v[8:9], off
	global_load_dwordx4 v[4:7], v[10:11], off
	v_mad_u64_u32 v[8:9], s[8:9], s16, v90, 0
	v_mov_b32_e32 v10, v9
	v_mad_u64_u32 v[10:11], s[8:9], s17, v90, v[10:11]
	v_mov_b32_e32 v9, v10
	v_lshl_add_u64 v[16:17], v[8:9], 4, v[40:41]
	v_mad_u64_u32 v[8:9], s[8:9], s16, v89, 0
	v_mov_b32_e32 v10, v9
	v_mad_u64_u32 v[10:11], s[8:9], s17, v89, v[10:11]
	v_mov_b32_e32 v9, v10
	v_lshl_add_u64 v[18:19], v[8:9], 4, v[40:41]
	global_load_dwordx4 v[8:11], v[16:17], off
	global_load_dwordx4 v[12:15], v[18:19], off
	v_mad_u64_u32 v[16:17], s[8:9], s16, v88, 0
	v_mov_b32_e32 v18, v17
	v_mad_u64_u32 v[18:19], s[8:9], s17, v88, v[18:19]
	v_mov_b32_e32 v17, v18
	v_lshl_add_u64 v[24:25], v[16:17], 4, v[40:41]
	v_mad_u64_u32 v[16:17], s[8:9], s16, v55, 0
	v_mov_b32_e32 v18, v17
	v_mad_u64_u32 v[18:19], s[8:9], s17, v55, v[18:19]
	v_mov_b32_e32 v17, v18
	v_lshl_add_u64 v[26:27], v[16:17], 4, v[40:41]
	global_load_dwordx4 v[16:19], v[24:25], off
	global_load_dwordx4 v[20:23], v[26:27], off
	v_add_u32_e32 v27, 0x42, v52
	v_mad_u64_u32 v[24:25], s[8:9], s16, v27, 0
	v_mov_b32_e32 v26, v25
	v_mad_u64_u32 v[26:27], s[8:9], s17, v27, v[26:27]
	v_mov_b32_e32 v25, v26
	v_add_u32_e32 v27, 0x4d, v52
	v_lshl_add_u64 v[32:33], v[24:25], 4, v[40:41]
	v_mad_u64_u32 v[24:25], s[8:9], s16, v27, 0
	v_mov_b32_e32 v26, v25
	v_mad_u64_u32 v[26:27], s[8:9], s17, v27, v[26:27]
	v_mov_b32_e32 v25, v26
	v_lshl_add_u64 v[34:35], v[24:25], 4, v[40:41]
	global_load_dwordx4 v[24:27], v[32:33], off
	global_load_dwordx4 v[28:31], v[34:35], off
	v_add_u32_e32 v35, 0x58, v52
	v_mad_u64_u32 v[32:33], s[8:9], s16, v35, 0
	v_mov_b32_e32 v34, v33
	v_mad_u64_u32 v[34:35], s[8:9], s17, v35, v[34:35]
	v_mov_b32_e32 v33, v34
	v_add_u32_e32 v35, 0x63, v52
	v_lshl_add_u64 v[42:43], v[32:33], 4, v[40:41]
	v_mad_u64_u32 v[32:33], s[8:9], s16, v35, 0
	v_mov_b32_e32 v34, v33
	v_mad_u64_u32 v[34:35], s[8:9], s17, v35, v[34:35]
	v_mov_b32_e32 v33, v34
	v_lshl_add_u64 v[44:45], v[32:33], 4, v[40:41]
	global_load_dwordx4 v[32:35], v[42:43], off
	global_load_dwordx4 v[36:39], v[44:45], off
	v_add_u32_e32 v45, 0x6e, v52
	v_mad_u64_u32 v[42:43], s[8:9], s16, v45, 0
	v_mov_b32_e32 v44, v43
	v_mad_u64_u32 v[44:45], s[8:9], s17, v45, v[44:45]
	v_mov_b32_e32 v43, v44
	v_lshl_add_u64 v[40:41], v[42:43], 4, v[40:41]
	global_load_dwordx4 v[40:43], v[40:41], off
	v_mul_u32_u24_e32 v44, 0x790, v54
	v_add3_u32 v44, 0, v44, v92
	s_waitcnt vmcnt(10)
	ds_write_b128 v44, v[0:3]
	s_waitcnt vmcnt(9)
	ds_write_b128 v44, v[4:7] offset:176
	s_waitcnt vmcnt(8)
	ds_write_b128 v44, v[8:11] offset:352
	;; [unrolled: 2-line block ×10, first 2 shown]
.LBB0_14:
	s_or_b64 exec, exec, s[14:15]
	s_add_u32 s8, 0, 0x5d161400
	s_addc_u32 s9, 0, 0x54
	s_add_i32 s9, s9, 0x1745d120
	s_mul_hi_u32 s17, s8, -11
	s_sub_i32 s17, s17, s8
	s_mul_i32 s18, s9, -11
	s_mul_i32 s14, s8, -11
	s_add_i32 s17, s17, s18
	s_mul_hi_u32 s15, s9, s14
	s_mul_i32 s16, s9, s14
	s_mul_i32 s19, s8, s17
	s_mul_hi_u32 s14, s8, s14
	s_mul_hi_u32 s18, s8, s17
	s_add_u32 s14, s14, s19
	s_addc_u32 s18, 0, s18
	s_add_u32 s14, s14, s16
	s_mul_hi_u32 s19, s9, s17
	s_addc_u32 s14, s18, s15
	s_addc_u32 s15, s19, 0
	s_mul_i32 s16, s9, s17
	s_add_u32 s14, s14, s16
	v_mov_b32_e32 v0, s14
	s_addc_u32 s15, 0, s15
	v_add_co_u32_e32 v4, vcc, s8, v0
	s_cmp_lg_u64 vcc, 0
	v_lshl_add_u64 v[44:45], s[28:29], 0, v[52:53]
	s_addc_u32 s14, s9, s15
	v_mad_u64_u32 v[0:1], s[8:9], v44, s14, 0
	v_mul_hi_u32 v2, v44, v4
	v_mov_b32_e32 v3, v53
	v_lshl_add_u64 v[0:1], v[2:3], 0, v[0:1]
	v_mad_u64_u32 v[4:5], s[8:9], v45, v4, 0
	v_add_co_u32_e32 v0, vcc, v0, v4
	v_mad_u64_u32 v[2:3], s[8:9], v45, s14, 0
	s_nop 0
	v_addc_co_u32_e32 v0, vcc, v1, v5, vcc
	v_mov_b32_e32 v1, v53
	s_nop 0
	v_addc_co_u32_e32 v3, vcc, 0, v3, vcc
	v_lshl_add_u64 v[0:1], v[0:1], 0, v[2:3]
	v_mad_u64_u32 v[2:3], s[8:9], v0, 11, 0
	v_mov_b32_e32 v0, v3
	v_mad_u64_u32 v[0:1], s[8:9], v1, 11, v[0:1]
	v_sub_co_u32_e32 v1, vcc, v44, v2
	s_load_dwordx2 s[2:3], s[2:3], 0x0
	s_nop 0
	v_subb_co_u32_e32 v0, vcc, v45, v0, vcc
	v_subrev_co_u32_e32 v2, vcc, 11, v1
	s_waitcnt lgkmcnt(0)
	s_nop 0
	v_subbrev_co_u32_e32 v3, vcc, 0, v0, vcc
	v_cmp_lt_u32_e32 vcc, 10, v2
	s_barrier
	s_nop 0
	v_cndmask_b32_e64 v4, 0, -1, vcc
	v_cmp_eq_u32_e32 vcc, 0, v3
	s_mov_b32 s28, 0xf8bb580b
	s_mov_b32 s42, 0x8eee2c13
	v_cndmask_b32_e32 v3, -1, v4, vcc
	v_add_u32_e32 v4, -11, v2
	v_cmp_ne_u32_e32 vcc, 0, v3
	s_mov_b32 s18, 0x43842ef
	s_mov_b32 s22, 0xbb3a28a1
	v_cndmask_b32_e32 v2, v2, v4, vcc
	v_cmp_lt_u32_e32 vcc, 10, v1
	s_mov_b32 s36, 0xfd768dbf
	s_mov_b32 s29, 0xbfe14ced
	v_cndmask_b32_e64 v3, 0, -1, vcc
	v_cmp_eq_u32_e32 vcc, 0, v0
	s_mov_b32 s20, 0x8764f0ba
	s_mov_b32 s43, 0xbfed1bb4
	v_cndmask_b32_e32 v0, -1, v3, vcc
	v_cmp_ne_u32_e32 vcc, 0, v0
	s_mov_b32 s8, 0xd9c712b6
	s_mov_b32 s19, 0xbfefac9e
	v_cndmask_b32_e32 v0, v1, v2, vcc
	v_mul_u32_u24_e32 v0, 0x79, v0
	v_lshlrev_b32_e32 v0, 4, v0
	v_lshlrev_b32_e32 v1, 4, v54
	v_add3_u32 v40, 0, v0, v1
	v_add3_u32 v53, 0, v1, v0
	ds_read_b128 v[28:31], v40
	ds_read_b128 v[36:39], v53 offset:176
	ds_read_b128 v[32:35], v53 offset:352
	;; [unrolled: 1-line block ×10, first 2 shown]
	s_waitcnt lgkmcnt(9)
	v_add_f64 v[0:1], v[28:29], v[36:37]
	v_add_f64 v[2:3], v[30:31], v[38:39]
	s_waitcnt lgkmcnt(8)
	v_add_f64 v[0:1], v[0:1], v[32:33]
	v_add_f64 v[2:3], v[2:3], v[34:35]
	;; [unrolled: 3-line block ×8, first 2 shown]
	s_waitcnt lgkmcnt(1)
	v_add_f64 v[0:1], v[0:1], v[46:47]
	s_waitcnt lgkmcnt(0)
	v_add_f64 v[42:43], v[36:37], v[56:57]
	v_add_f64 v[50:51], v[38:39], v[58:59]
	v_add_f64 v[36:37], v[36:37], -v[56:57]
	v_add_f64 v[38:39], v[38:39], -v[58:59]
	s_mov_b32 s14, 0x640f44db
	s_mov_b32 s23, 0xbfe82f19
	;; [unrolled: 1-line block ×5, first 2 shown]
	v_add_f64 v[2:3], v[2:3], v[48:49]
	v_add_f64 v[0:1], v[0:1], v[56:57]
	v_mul_f64 v[56:57], v[38:39], s[28:29]
	s_mov_b32 s21, 0x3feaeb8c
	v_mul_f64 v[60:61], v[36:37], s[28:29]
	v_mul_f64 v[64:65], v[38:39], s[42:43]
	s_mov_b32 s9, 0x3fda9628
	v_mul_f64 v[68:69], v[36:37], s[42:43]
	;; [unrolled: 3-line block ×3, first 2 shown]
	v_add_f64 v[78:79], v[32:33], v[46:47]
	v_add_f64 v[32:33], v[32:33], -v[46:47]
	v_mul_f64 v[46:47], v[38:39], s[22:23]
	s_mov_b32 s17, 0xbfe4f49e
	v_mul_f64 v[38:39], v[38:39], s[36:37]
	s_mov_b32 s35, 0xbfeeb42a
	v_mul_f64 v[84:85], v[36:37], s[22:23]
	v_mul_f64 v[36:37], v[36:37], s[36:37]
	v_add_f64 v[2:3], v[2:3], v[58:59]
	v_fma_f64 v[58:59], v[42:43], s[20:21], -v[56:57]
	v_fma_f64 v[62:63], s[20:21], v[50:51], v[60:61]
	v_fmac_f64_e32 v[56:57], s[20:21], v[42:43]
	v_fma_f64 v[60:61], v[50:51], s[20:21], -v[60:61]
	v_fma_f64 v[66:67], v[42:43], s[8:9], -v[64:65]
	v_fma_f64 v[70:71], s[8:9], v[50:51], v[68:69]
	v_fmac_f64_e32 v[64:65], s[8:9], v[42:43]
	v_fma_f64 v[68:69], v[50:51], s[8:9], -v[68:69]
	v_fma_f64 v[74:75], v[42:43], s[14:15], -v[72:73]
	v_fmac_f64_e32 v[72:73], s[14:15], v[42:43]
	v_add_f64 v[80:81], v[34:35], v[48:49]
	v_add_f64 v[34:35], v[34:35], -v[48:49]
	v_fma_f64 v[48:49], v[42:43], s[16:17], -v[46:47]
	v_fmac_f64_e32 v[46:47], s[16:17], v[42:43]
	v_fma_f64 v[82:83], v[42:43], s[34:35], -v[38:39]
	v_fmac_f64_e32 v[38:39], s[34:35], v[42:43]
	v_fma_f64 v[42:43], s[14:15], v[50:51], v[76:77]
	v_fma_f64 v[76:77], v[50:51], s[14:15], -v[76:77]
	v_fma_f64 v[86:87], s[16:17], v[50:51], v[84:85]
	v_fma_f64 v[84:85], v[50:51], s[16:17], -v[84:85]
	v_fma_f64 v[94:95], s[34:35], v[50:51], v[36:37]
	v_fma_f64 v[36:37], v[50:51], s[34:35], -v[36:37]
	v_add_f64 v[50:51], v[28:29], v[58:59]
	v_add_f64 v[58:59], v[30:31], v[62:63]
	;; [unrolled: 1-line block ×13, first 2 shown]
	v_mul_f64 v[36:37], v[34:35], s[42:43]
	v_add_f64 v[56:57], v[28:29], v[56:57]
	v_add_f64 v[64:65], v[28:29], v[64:65]
	;; [unrolled: 1-line block ×7, first 2 shown]
	v_fma_f64 v[38:39], v[78:79], s[8:9], -v[36:37]
	v_add_f64 v[38:39], v[38:39], v[50:51]
	v_mul_f64 v[50:51], v[32:33], s[42:43]
	v_fmac_f64_e32 v[36:37], s[8:9], v[78:79]
	v_fma_f64 v[94:95], s[8:9], v[80:81], v[50:51]
	v_add_f64 v[36:37], v[36:37], v[56:57]
	v_fma_f64 v[50:51], v[80:81], s[8:9], -v[50:51]
	v_mul_f64 v[56:57], v[34:35], s[22:23]
	v_add_f64 v[50:51], v[50:51], v[60:61]
	v_fma_f64 v[60:61], v[78:79], s[16:17], -v[56:57]
	v_add_f64 v[60:61], v[60:61], v[62:63]
	v_mul_f64 v[62:63], v[32:33], s[22:23]
	v_fmac_f64_e32 v[56:57], s[16:17], v[78:79]
	s_mov_b32 s47, 0x3fd207e7
	s_mov_b32 s46, s36
	v_add_f64 v[58:59], v[94:95], v[58:59]
	v_fma_f64 v[94:95], s[16:17], v[80:81], v[62:63]
	v_add_f64 v[56:57], v[56:57], v[64:65]
	v_fma_f64 v[62:63], v[80:81], s[16:17], -v[62:63]
	v_mul_f64 v[64:65], v[34:35], s[46:47]
	v_add_f64 v[62:63], v[62:63], v[68:69]
	v_fma_f64 v[68:69], v[78:79], s[34:35], -v[64:65]
	v_add_f64 v[68:69], v[68:69], v[70:71]
	v_mul_f64 v[70:71], v[32:33], s[46:47]
	v_fmac_f64_e32 v[64:65], s[34:35], v[78:79]
	s_mov_b32 s45, 0x3fefac9e
	s_mov_b32 s44, s18
	v_add_f64 v[66:67], v[94:95], v[66:67]
	v_fma_f64 v[94:95], s[34:35], v[80:81], v[70:71]
	v_add_f64 v[64:65], v[64:65], v[72:73]
	v_fma_f64 v[70:71], v[80:81], s[34:35], -v[70:71]
	v_mul_f64 v[72:73], v[34:35], s[44:45]
	v_add_f64 v[70:71], v[70:71], v[74:75]
	v_fma_f64 v[74:75], v[78:79], s[14:15], -v[72:73]
	s_mov_b32 s39, 0x3fe14ced
	s_mov_b32 s38, s28
	v_add_f64 v[48:49], v[74:75], v[48:49]
	v_mul_f64 v[74:75], v[32:33], s[44:45]
	v_fmac_f64_e32 v[72:73], s[14:15], v[78:79]
	v_mul_f64 v[34:35], v[34:35], s[38:39]
	v_add_f64 v[42:43], v[94:95], v[42:43]
	v_fma_f64 v[94:95], s[14:15], v[80:81], v[74:75]
	v_add_f64 v[46:47], v[72:73], v[46:47]
	v_fma_f64 v[72:73], v[80:81], s[14:15], -v[74:75]
	v_fma_f64 v[74:75], v[78:79], s[20:21], -v[34:35]
	v_mul_f64 v[32:33], v[32:33], s[38:39]
	v_fmac_f64_e32 v[34:35], s[20:21], v[78:79]
	v_add_f64 v[74:75], v[74:75], v[82:83]
	v_fma_f64 v[82:83], s[20:21], v[80:81], v[32:33]
	v_add_f64 v[28:29], v[34:35], v[28:29]
	v_fma_f64 v[32:33], v[80:81], s[20:21], -v[32:33]
	v_add_f64 v[34:35], v[22:23], v[26:27]
	v_add_f64 v[22:23], v[22:23], -v[26:27]
	v_add_f64 v[30:31], v[32:33], v[30:31]
	v_add_f64 v[32:33], v[20:21], v[24:25]
	v_add_f64 v[20:21], v[20:21], -v[24:25]
	v_mul_f64 v[24:25], v[22:23], s[18:19]
	v_fma_f64 v[26:27], v[32:33], s[14:15], -v[24:25]
	v_add_f64 v[26:27], v[26:27], v[38:39]
	v_mul_f64 v[38:39], v[20:21], s[18:19]
	v_fmac_f64_e32 v[24:25], s[14:15], v[32:33]
	v_fma_f64 v[78:79], s[14:15], v[34:35], v[38:39]
	v_add_f64 v[24:25], v[24:25], v[36:37]
	v_fma_f64 v[36:37], v[34:35], s[14:15], -v[38:39]
	v_mul_f64 v[38:39], v[22:23], s[46:47]
	v_add_f64 v[36:37], v[36:37], v[50:51]
	v_fma_f64 v[50:51], v[32:33], s[34:35], -v[38:39]
	v_add_f64 v[50:51], v[50:51], v[60:61]
	v_mul_f64 v[60:61], v[20:21], s[46:47]
	v_fmac_f64_e32 v[38:39], s[34:35], v[32:33]
	s_mov_b32 s41, 0x3fed1bb4
	s_mov_b32 s40, s42
	v_add_f64 v[58:59], v[78:79], v[58:59]
	v_fma_f64 v[78:79], s[34:35], v[34:35], v[60:61]
	v_add_f64 v[38:39], v[38:39], v[56:57]
	v_fma_f64 v[56:57], v[34:35], s[34:35], -v[60:61]
	v_mul_f64 v[60:61], v[22:23], s[40:41]
	v_add_f64 v[56:57], v[56:57], v[62:63]
	v_fma_f64 v[62:63], v[32:33], s[8:9], -v[60:61]
	v_add_f64 v[62:63], v[62:63], v[68:69]
	v_mul_f64 v[68:69], v[20:21], s[40:41]
	v_fmac_f64_e32 v[60:61], s[8:9], v[32:33]
	v_add_f64 v[66:67], v[78:79], v[66:67]
	v_fma_f64 v[78:79], s[8:9], v[34:35], v[68:69]
	v_add_f64 v[60:61], v[60:61], v[64:65]
	v_fma_f64 v[64:65], v[34:35], s[8:9], -v[68:69]
	v_mul_f64 v[68:69], v[22:23], s[28:29]
	v_add_f64 v[64:65], v[64:65], v[70:71]
	v_fma_f64 v[70:71], v[32:33], s[20:21], -v[68:69]
	v_add_f64 v[48:49], v[70:71], v[48:49]
	v_mul_f64 v[70:71], v[20:21], s[28:29]
	v_add_f64 v[76:77], v[94:95], v[76:77]
	v_add_f64 v[42:43], v[78:79], v[42:43]
	v_fma_f64 v[78:79], s[20:21], v[34:35], v[70:71]
	v_fmac_f64_e32 v[68:69], s[20:21], v[32:33]
	v_mul_f64 v[22:23], v[22:23], s[22:23]
	v_add_f64 v[76:77], v[78:79], v[76:77]
	v_add_f64 v[46:47], v[68:69], v[46:47]
	v_fma_f64 v[68:69], v[34:35], s[20:21], -v[70:71]
	v_fma_f64 v[70:71], v[32:33], s[16:17], -v[22:23]
	v_add_f64 v[78:79], v[14:15], v[18:19]
	v_add_f64 v[14:15], v[14:15], -v[18:19]
	v_add_f64 v[70:71], v[70:71], v[74:75]
	v_add_f64 v[74:75], v[12:13], v[16:17]
	v_add_f64 v[12:13], v[12:13], -v[16:17]
	v_mul_f64 v[16:17], v[14:15], s[22:23]
	v_add_f64 v[72:73], v[72:73], v[84:85]
	v_mul_f64 v[20:21], v[20:21], s[22:23]
	v_fma_f64 v[18:19], v[74:75], s[16:17], -v[16:17]
	v_add_f64 v[82:83], v[82:83], v[86:87]
	v_add_f64 v[68:69], v[68:69], v[72:73]
	v_fma_f64 v[72:73], s[16:17], v[34:35], v[20:21]
	v_add_f64 v[80:81], v[18:19], v[26:27]
	v_mul_f64 v[18:19], v[12:13], s[22:23]
	v_fmac_f64_e32 v[16:17], s[16:17], v[74:75]
	v_add_f64 v[72:73], v[72:73], v[82:83]
	v_add_f64 v[82:83], v[16:17], v[24:25]
	v_fma_f64 v[16:17], v[78:79], s[16:17], -v[18:19]
	v_fma_f64 v[20:21], v[34:35], s[16:17], -v[20:21]
	v_add_f64 v[84:85], v[16:17], v[36:37]
	v_mul_f64 v[16:17], v[14:15], s[44:45]
	v_add_f64 v[30:31], v[20:21], v[30:31]
	v_fma_f64 v[20:21], s[16:17], v[78:79], v[18:19]
	v_fma_f64 v[18:19], v[74:75], s[14:15], -v[16:17]
	v_add_f64 v[50:51], v[18:19], v[50:51]
	v_mul_f64 v[18:19], v[12:13], s[44:45]
	v_fmac_f64_e32 v[16:17], s[14:15], v[74:75]
	v_add_f64 v[86:87], v[16:17], v[38:39]
	v_fma_f64 v[16:17], v[78:79], s[14:15], -v[18:19]
	v_add_f64 v[94:95], v[16:17], v[56:57]
	v_mul_f64 v[16:17], v[14:15], s[28:29]
	v_add_f64 v[58:59], v[20:21], v[58:59]
	v_fma_f64 v[20:21], s[14:15], v[78:79], v[18:19]
	v_fma_f64 v[18:19], v[74:75], s[20:21], -v[16:17]
	v_add_f64 v[38:39], v[18:19], v[62:63]
	v_mul_f64 v[18:19], v[12:13], s[28:29]
	v_fmac_f64_e32 v[16:17], s[20:21], v[74:75]
	v_add_f64 v[34:35], v[16:17], v[60:61]
	v_fma_f64 v[16:17], v[78:79], s[20:21], -v[18:19]
	v_fmac_f64_e32 v[22:23], s[16:17], v[32:33]
	v_add_f64 v[32:33], v[16:17], v[64:65]
	v_mul_f64 v[16:17], v[14:15], s[36:37]
	v_add_f64 v[66:67], v[20:21], v[66:67]
	v_fma_f64 v[20:21], s[20:21], v[78:79], v[18:19]
	v_fma_f64 v[18:19], v[74:75], s[34:35], -v[16:17]
	v_add_f64 v[26:27], v[18:19], v[48:49]
	v_mul_f64 v[18:19], v[12:13], s[36:37]
	v_fmac_f64_e32 v[16:17], s[34:35], v[74:75]
	v_add_f64 v[28:29], v[22:23], v[28:29]
	v_add_f64 v[36:37], v[20:21], v[42:43]
	v_fma_f64 v[20:21], s[34:35], v[78:79], v[18:19]
	v_add_f64 v[22:23], v[16:17], v[46:47]
	v_fma_f64 v[16:17], v[78:79], s[34:35], -v[18:19]
	v_mul_f64 v[14:15], v[14:15], s[40:41]
	v_add_f64 v[24:25], v[20:21], v[76:77]
	v_add_f64 v[20:21], v[16:17], v[68:69]
	v_fma_f64 v[16:17], v[74:75], s[8:9], -v[14:15]
	v_mul_f64 v[12:13], v[12:13], s[40:41]
	v_fmac_f64_e32 v[14:15], s[8:9], v[74:75]
	v_add_f64 v[18:19], v[16:17], v[70:71]
	v_fma_f64 v[16:17], s[8:9], v[78:79], v[12:13]
	v_add_f64 v[14:15], v[14:15], v[28:29]
	v_fma_f64 v[12:13], v[78:79], s[8:9], -v[12:13]
	v_add_f64 v[28:29], v[6:7], v[10:11]
	v_add_f64 v[10:11], v[6:7], -v[10:11]
	v_add_f64 v[12:13], v[12:13], v[30:31]
	v_add_f64 v[30:31], v[4:5], v[8:9]
	v_add_f64 v[8:9], v[4:5], -v[8:9]
	v_mul_f64 v[4:5], v[10:11], s[36:37]
	v_fma_f64 v[6:7], v[30:31], s[34:35], -v[4:5]
	v_add_f64 v[46:47], v[6:7], v[80:81]
	v_mul_f64 v[6:7], v[8:9], s[36:37]
	v_fma_f64 v[42:43], s[34:35], v[28:29], v[6:7]
	v_add_f64 v[48:49], v[42:43], v[58:59]
	v_mul_f64 v[42:43], v[10:11], s[38:39]
	v_fma_f64 v[56:57], v[30:31], s[20:21], -v[42:43]
	v_add_f64 v[56:57], v[56:57], v[50:51]
	v_mul_f64 v[50:51], v[8:9], s[38:39]
	v_fmac_f64_e32 v[42:43], s[20:21], v[30:31]
	v_add_f64 v[60:61], v[42:43], v[86:87]
	v_fma_f64 v[42:43], v[28:29], s[20:21], -v[50:51]
	v_add_f64 v[62:63], v[42:43], v[94:95]
	v_mul_f64 v[42:43], v[10:11], s[22:23]
	v_fma_f64 v[58:59], s[20:21], v[28:29], v[50:51]
	v_fma_f64 v[50:51], v[30:31], s[16:17], -v[42:43]
	v_add_f64 v[64:65], v[50:51], v[38:39]
	v_mul_f64 v[38:39], v[8:9], s[22:23]
	v_fma_f64 v[50:51], s[16:17], v[28:29], v[38:39]
	v_add_f64 v[58:59], v[58:59], v[66:67]
	v_add_f64 v[66:67], v[50:51], v[36:37]
	v_fma_f64 v[36:37], v[28:29], s[16:17], -v[38:39]
	v_add_f64 v[36:37], v[36:37], v[32:33]
	v_mul_f64 v[32:33], v[10:11], s[40:41]
	v_fma_f64 v[38:39], v[30:31], s[8:9], -v[32:33]
	v_add_f64 v[68:69], v[38:39], v[26:27]
	v_mul_f64 v[26:27], v[8:9], s[40:41]
	v_fma_f64 v[38:39], s[8:9], v[28:29], v[26:27]
	v_add_f64 v[70:71], v[38:39], v[24:25]
	v_fma_f64 v[24:25], v[28:29], s[8:9], -v[26:27]
	v_mul_f64 v[10:11], v[10:11], s[18:19]
	v_mul_f64 v[26:27], v[8:9], s[18:19]
	v_add_f64 v[16:17], v[16:17], v[72:73]
	v_add_f64 v[24:25], v[24:25], v[20:21]
	v_fma_f64 v[20:21], v[30:31], s[14:15], -v[10:11]
	v_fma_f64 v[8:9], s[14:15], v[28:29], v[26:27]
	v_fmac_f64_e32 v[10:11], s[14:15], v[30:31]
	v_add_f64 v[18:19], v[20:21], v[18:19]
	v_add_f64 v[20:21], v[8:9], v[16:17]
	;; [unrolled: 1-line block ×3, first 2 shown]
	v_fma_f64 v[10:11], v[28:29], s[14:15], -v[26:27]
	s_movk_i32 s27, 0xa0
	v_fmac_f64_e32 v[4:5], s[34:35], v[30:31]
	v_fma_f64 v[6:7], v[28:29], s[34:35], -v[6:7]
	v_fmac_f64_e32 v[42:43], s[16:17], v[30:31]
	v_fmac_f64_e32 v[32:33], s[8:9], v[30:31]
	v_add_f64 v[10:11], v[10:11], v[12:13]
	v_mad_u32_u24 v12, v54, s27, v53
	v_add_f64 v[4:5], v[4:5], v[82:83]
	v_add_f64 v[6:7], v[6:7], v[84:85]
	v_add_f64 v[34:35], v[42:43], v[34:35]
	v_add_f64 v[22:23], v[32:33], v[22:23]
	s_barrier
	ds_write_b128 v12, v[0:3]
	ds_write_b128 v12, v[46:49] offset:16
	ds_write_b128 v12, v[56:59] offset:32
	;; [unrolled: 1-line block ×10, first 2 shown]
	v_mul_u32_u24_e32 v0, 10, v54
	v_lshlrev_b32_e32 v41, 4, v0
	s_waitcnt lgkmcnt(0)
	s_barrier
	global_load_dwordx4 v[12:15], v41, s[30:31]
	global_load_dwordx4 v[8:11], v41, s[30:31] offset:16
	global_load_dwordx4 v[4:7], v41, s[30:31] offset:32
	;; [unrolled: 1-line block ×9, first 2 shown]
	ds_read_b128 v[46:49], v53 offset:176
	ds_read_b128 v[56:59], v53 offset:352
	;; [unrolled: 1-line block ×7, first 2 shown]
	ds_read_b128 v[40:43], v40
	v_mov_b32_e32 v45, 0x1000
	v_mov_b32_e32 v93, 0x2000
	s_waitcnt vmcnt(9) lgkmcnt(7)
	v_mul_f64 v[50:51], v[48:49], v[14:15]
	s_waitcnt vmcnt(8) lgkmcnt(6)
	v_mul_f64 v[82:83], v[58:59], v[10:11]
	v_mul_f64 v[84:85], v[56:57], v[10:11]
	;; [unrolled: 1-line block ×3, first 2 shown]
	v_fma_f64 v[82:83], v[56:57], v[8:9], -v[82:83]
	v_fmac_f64_e32 v[84:85], v[58:59], v[8:9]
	s_waitcnt vmcnt(7) lgkmcnt(5)
	v_mul_f64 v[8:9], v[62:63], v[6:7]
	v_fma_f64 v[50:51], v[46:47], v[12:13], -v[50:51]
	v_fmac_f64_e32 v[80:81], v[48:49], v[12:13]
	ds_read_b128 v[12:15], v53 offset:1408
	ds_read_b128 v[46:49], v53 offset:1584
	v_fma_f64 v[86:87], v[60:61], v[4:5], -v[8:9]
	v_mul_f64 v[60:61], v[60:61], v[6:7]
	ds_read_b128 v[56:59], v53 offset:1760
	v_fmac_f64_e32 v[60:61], v[62:63], v[4:5]
	s_waitcnt vmcnt(6) lgkmcnt(7)
	v_mul_f64 v[4:5], v[66:67], v[2:3]
	v_fma_f64 v[62:63], v[64:65], v[0:1], -v[4:5]
	v_mul_f64 v[64:65], v[64:65], v[2:3]
	s_waitcnt vmcnt(4) lgkmcnt(5)
	v_mul_f64 v[2:3], v[74:75], v[26:27]
	v_fmac_f64_e32 v[64:65], v[66:67], v[0:1]
	v_mul_f64 v[0:1], v[70:71], v[30:31]
	v_fma_f64 v[8:9], v[72:73], v[24:25], -v[2:3]
	s_waitcnt vmcnt(3) lgkmcnt(4)
	v_mul_f64 v[2:3], v[78:79], v[22:23]
	v_fma_f64 v[0:1], v[68:69], v[28:29], -v[0:1]
	v_mul_f64 v[6:7], v[68:69], v[30:31]
	v_fma_f64 v[66:67], v[76:77], v[20:21], -v[2:3]
	v_mul_f64 v[68:69], v[76:77], v[22:23]
	s_waitcnt vmcnt(2) lgkmcnt(2)
	v_mul_f64 v[2:3], v[14:15], v[18:19]
	v_fmac_f64_e32 v[68:69], v[78:79], v[20:21]
	v_fma_f64 v[20:21], v[12:13], v[16:17], -v[2:3]
	v_mul_f64 v[12:13], v[12:13], v[18:19]
	s_waitcnt vmcnt(1) lgkmcnt(1)
	v_mul_f64 v[2:3], v[48:49], v[34:35]
	v_fmac_f64_e32 v[12:13], v[14:15], v[16:17]
	v_fma_f64 v[14:15], v[46:47], v[32:33], -v[2:3]
	s_waitcnt vmcnt(0) lgkmcnt(0)
	v_mul_f64 v[2:3], v[58:59], v[38:39]
	v_mul_f64 v[4:5], v[56:57], v[38:39]
	;; [unrolled: 1-line block ×3, first 2 shown]
	v_fma_f64 v[2:3], v[56:57], v[36:37], -v[2:3]
	v_fmac_f64_e32 v[4:5], v[58:59], v[36:37]
	v_fmac_f64_e32 v[10:11], v[74:75], v[24:25]
	v_mul_f64 v[16:17], v[46:47], v[34:35]
	v_add_f64 v[24:25], v[50:51], -v[2:3]
	v_add_f64 v[26:27], v[80:81], -v[4:5]
	v_fmac_f64_e32 v[6:7], v[70:71], v[28:29]
	v_fmac_f64_e32 v[16:17], v[48:49], v[32:33]
	v_add_f64 v[18:19], v[50:51], v[2:3]
	v_add_f64 v[22:23], v[80:81], v[4:5]
	v_mul_f64 v[28:29], v[26:27], s[28:29]
	v_mul_f64 v[32:33], v[24:25], s[28:29]
	;; [unrolled: 1-line block ×10, first 2 shown]
	v_fma_f64 v[30:31], v[18:19], s[20:21], -v[28:29]
	v_fma_f64 v[34:35], s[20:21], v[22:23], v[32:33]
	v_fmac_f64_e32 v[28:29], s[20:21], v[18:19]
	v_fma_f64 v[32:33], v[22:23], s[20:21], -v[32:33]
	v_fma_f64 v[38:39], v[18:19], s[8:9], -v[36:37]
	v_fma_f64 v[48:49], s[8:9], v[22:23], v[46:47]
	v_fmac_f64_e32 v[36:37], s[8:9], v[18:19]
	v_fma_f64 v[46:47], v[22:23], s[8:9], -v[46:47]
	v_fma_f64 v[58:59], v[18:19], s[14:15], -v[56:57]
	v_fmac_f64_e32 v[56:57], s[14:15], v[18:19]
	v_fma_f64 v[74:75], v[18:19], s[16:17], -v[72:73]
	v_fmac_f64_e32 v[72:73], s[16:17], v[18:19]
	;; [unrolled: 2-line block ×3, first 2 shown]
	v_fma_f64 v[18:19], s[14:15], v[22:23], v[70:71]
	v_fma_f64 v[70:71], v[22:23], s[14:15], -v[70:71]
	v_fma_f64 v[94:95], s[16:17], v[22:23], v[78:79]
	v_fma_f64 v[78:79], v[22:23], s[16:17], -v[78:79]
	;; [unrolled: 2-line block ×3, first 2 shown]
	v_add_f64 v[24:25], v[40:41], v[50:51]
	v_add_f64 v[24:25], v[24:25], v[82:83]
	;; [unrolled: 1-line block ×30, first 2 shown]
	v_add_f64 v[16:17], v[84:85], -v[16:17]
	v_add_f64 v[34:35], v[42:43], v[34:35]
	v_add_f64 v[32:33], v[42:43], v[32:33]
	;; [unrolled: 1-line block ×12, first 2 shown]
	v_mul_f64 v[42:43], v[16:17], s[42:43]
	v_add_f64 v[14:15], v[82:83], -v[14:15]
	v_fma_f64 v[50:51], v[24:25], s[8:9], -v[42:43]
	v_add_f64 v[30:31], v[50:51], v[30:31]
	v_mul_f64 v[50:51], v[14:15], s[42:43]
	v_fmac_f64_e32 v[42:43], s[8:9], v[24:25]
	v_add_f64 v[28:29], v[42:43], v[28:29]
	v_fma_f64 v[42:43], v[40:41], s[8:9], -v[50:51]
	v_add_f64 v[32:33], v[42:43], v[32:33]
	v_mul_f64 v[42:43], v[16:17], s[22:23]
	v_fma_f64 v[82:83], s[8:9], v[40:41], v[50:51]
	v_fma_f64 v[50:51], v[24:25], s[16:17], -v[42:43]
	v_add_f64 v[38:39], v[50:51], v[38:39]
	v_mul_f64 v[50:51], v[14:15], s[22:23]
	v_fmac_f64_e32 v[42:43], s[16:17], v[24:25]
	v_add_f64 v[36:37], v[42:43], v[36:37]
	v_fma_f64 v[42:43], v[40:41], s[16:17], -v[50:51]
	v_add_f64 v[42:43], v[42:43], v[46:47]
	v_mul_f64 v[46:47], v[16:17], s[46:47]
	v_add_f64 v[34:35], v[82:83], v[34:35]
	v_fma_f64 v[82:83], s[16:17], v[40:41], v[50:51]
	v_fma_f64 v[50:51], v[24:25], s[34:35], -v[46:47]
	v_add_f64 v[50:51], v[50:51], v[58:59]
	v_mul_f64 v[58:59], v[14:15], s[46:47]
	v_fmac_f64_e32 v[46:47], s[34:35], v[24:25]
	v_add_f64 v[48:49], v[82:83], v[48:49]
	v_fma_f64 v[82:83], s[34:35], v[40:41], v[58:59]
	v_add_f64 v[46:47], v[46:47], v[56:57]
	v_fma_f64 v[56:57], v[40:41], s[34:35], -v[58:59]
	v_mul_f64 v[58:59], v[16:17], s[44:45]
	v_add_f64 v[56:57], v[56:57], v[70:71]
	v_fma_f64 v[70:71], v[24:25], s[14:15], -v[58:59]
	v_add_f64 v[70:71], v[70:71], v[74:75]
	v_mul_f64 v[74:75], v[14:15], s[44:45]
	v_fmac_f64_e32 v[58:59], s[14:15], v[24:25]
	v_mul_f64 v[16:17], v[16:17], s[38:39]
	v_add_f64 v[18:19], v[82:83], v[18:19]
	v_fma_f64 v[82:83], s[14:15], v[40:41], v[74:75]
	v_add_f64 v[58:59], v[58:59], v[72:73]
	v_fma_f64 v[72:73], v[40:41], s[14:15], -v[74:75]
	v_fma_f64 v[74:75], v[24:25], s[20:21], -v[16:17]
	v_fmac_f64_e32 v[16:17], s[20:21], v[24:25]
	v_add_f64 v[72:73], v[72:73], v[78:79]
	v_mul_f64 v[14:15], v[14:15], s[38:39]
	v_add_f64 v[78:79], v[16:17], v[26:27]
	v_add_f64 v[26:27], v[60:61], -v[12:13]
	v_add_f64 v[80:81], v[82:83], v[80:81]
	v_add_f64 v[74:75], v[74:75], v[76:77]
	v_fma_f64 v[76:77], s[20:21], v[40:41], v[14:15]
	v_fma_f64 v[14:15], v[40:41], s[20:21], -v[14:15]
	v_add_f64 v[82:83], v[86:87], v[20:21]
	v_add_f64 v[84:85], v[60:61], v[12:13]
	v_mul_f64 v[12:13], v[26:27], s[18:19]
	v_add_f64 v[40:41], v[14:15], v[22:23]
	v_add_f64 v[86:87], v[86:87], -v[20:21]
	v_fma_f64 v[14:15], v[82:83], s[14:15], -v[12:13]
	v_add_f64 v[76:77], v[76:77], v[94:95]
	v_add_f64 v[94:95], v[14:15], v[30:31]
	v_mul_f64 v[14:15], v[86:87], s[18:19]
	v_fmac_f64_e32 v[12:13], s[14:15], v[82:83]
	v_add_f64 v[98:99], v[12:13], v[28:29]
	v_fma_f64 v[12:13], v[84:85], s[14:15], -v[14:15]
	v_add_f64 v[100:101], v[12:13], v[32:33]
	v_mul_f64 v[12:13], v[26:27], s[46:47]
	v_fma_f64 v[16:17], s[14:15], v[84:85], v[14:15]
	v_fma_f64 v[14:15], v[82:83], s[34:35], -v[12:13]
	v_add_f64 v[102:103], v[14:15], v[38:39]
	v_mul_f64 v[14:15], v[86:87], s[46:47]
	v_fmac_f64_e32 v[12:13], s[34:35], v[82:83]
	v_add_f64 v[96:97], v[16:17], v[34:35]
	v_fma_f64 v[16:17], s[34:35], v[84:85], v[14:15]
	v_add_f64 v[104:105], v[12:13], v[36:37]
	v_fma_f64 v[12:13], v[84:85], s[34:35], -v[14:15]
	v_mul_f64 v[14:15], v[26:27], s[40:41]
	v_add_f64 v[48:49], v[16:17], v[48:49]
	v_add_f64 v[106:107], v[12:13], v[42:43]
	v_fma_f64 v[12:13], v[82:83], s[8:9], -v[14:15]
	v_mul_f64 v[16:17], v[86:87], s[40:41]
	v_add_f64 v[60:61], v[12:13], v[50:51]
	v_fma_f64 v[12:13], s[8:9], v[84:85], v[16:17]
	v_fma_f64 v[16:17], v[84:85], s[8:9], -v[16:17]
	v_mul_f64 v[22:23], v[26:27], s[28:29]
	v_add_f64 v[12:13], v[12:13], v[18:19]
	v_add_f64 v[16:17], v[16:17], v[56:57]
	v_fma_f64 v[18:19], v[82:83], s[20:21], -v[22:23]
	v_fmac_f64_e32 v[22:23], s[20:21], v[82:83]
	v_add_f64 v[56:57], v[64:65], v[68:69]
	v_add_f64 v[64:65], v[64:65], -v[68:69]
	v_mul_f64 v[24:25], v[86:87], s[28:29]
	v_add_f64 v[22:23], v[22:23], v[58:59]
	v_add_f64 v[58:59], v[62:63], v[66:67]
	v_mul_f64 v[38:39], v[64:65], s[22:23]
	v_fma_f64 v[20:21], s[20:21], v[84:85], v[24:25]
	v_fma_f64 v[34:35], v[58:59], s[16:17], -v[38:39]
	v_add_f64 v[20:21], v[20:21], v[80:81]
	v_mul_f64 v[30:31], v[26:27], s[22:23]
	v_mul_f64 v[32:33], v[86:87], s[22:23]
	v_add_f64 v[34:35], v[34:35], v[94:95]
	v_mul_lo_u32 v80, v44, v54
	v_mov_b32_e32 v94, 4
	v_fma_f64 v[24:25], v[84:85], s[20:21], -v[24:25]
	v_fma_f64 v[26:27], v[82:83], s[16:17], -v[30:31]
	v_fma_f64 v[28:29], s[16:17], v[84:85], v[32:33]
	v_fmac_f64_e32 v[30:31], s[16:17], v[82:83]
	v_lshlrev_b32_sdwa v68, v94, v80 dst_sel:DWORD dst_unused:UNUSED_PAD src0_sel:DWORD src1_sel:BYTE_0
	v_bfe_u32 v69, v80, 8, 8
	v_add_f64 v[24:25], v[24:25], v[72:73]
	v_add_f64 v[26:27], v[26:27], v[74:75]
	;; [unrolled: 1-line block ×4, first 2 shown]
	v_lshl_or_b32 v69, v69, 4, v45
	global_load_dwordx4 v[72:75], v68, s[12:13]
	global_load_dwordx4 v[76:79], v69, s[12:13]
	v_bfe_u32 v80, v80, 16, 8
	v_lshl_or_b32 v80, v80, 4, v93
	v_fmac_f64_e32 v[14:15], s[8:9], v[82:83]
	global_load_dwordx4 v[80:83], v80, s[12:13]
	v_add_f64 v[62:63], v[62:63], -v[66:67]
	v_mul_f64 v[50:51], v[64:65], s[44:45]
	v_mul_f64 v[66:67], v[62:63], s[44:45]
	v_add_f64 v[14:15], v[14:15], v[46:47]
	v_fma_f64 v[42:43], v[58:59], s[14:15], -v[50:51]
	v_fma_f64 v[46:47], s[14:15], v[56:57], v[66:67]
	v_fmac_f64_e32 v[50:51], s[14:15], v[58:59]
	v_add_f64 v[46:47], v[46:47], v[48:49]
	v_add_f64 v[48:49], v[50:51], v[104:105]
	v_fma_f64 v[50:51], v[56:57], s[14:15], -v[66:67]
	v_mul_f64 v[66:67], v[64:65], s[28:29]
	v_fma_f64 v[68:69], v[58:59], s[20:21], -v[66:67]
	v_add_f64 v[68:69], v[68:69], v[60:61]
	v_mul_f64 v[60:61], v[62:63], s[28:29]
	v_add_f64 v[18:19], v[18:19], v[70:71]
	v_fma_f64 v[70:71], s[20:21], v[56:57], v[60:61]
	v_fma_f64 v[32:33], v[84:85], s[16:17], -v[32:33]
	v_add_f64 v[84:85], v[70:71], v[12:13]
	v_fma_f64 v[12:13], v[56:57], s[20:21], -v[60:61]
	v_fmac_f64_e32 v[66:67], s[20:21], v[58:59]
	v_add_f64 v[60:61], v[12:13], v[16:17]
	v_mul_f64 v[12:13], v[64:65], s[36:37]
	v_add_f64 v[66:67], v[66:67], v[14:15]
	v_fma_f64 v[14:15], v[58:59], s[34:35], -v[12:13]
	v_add_f64 v[86:87], v[14:15], v[18:19]
	v_mul_f64 v[14:15], v[62:63], s[36:37]
	v_fmac_f64_e32 v[12:13], s[34:35], v[58:59]
	v_add_f64 v[22:23], v[12:13], v[22:23]
	v_fma_f64 v[12:13], v[56:57], s[34:35], -v[14:15]
	v_add_f64 v[32:33], v[32:33], v[40:41]
	v_mul_f64 v[40:41], v[62:63], s[22:23]
	v_add_f64 v[70:71], v[12:13], v[24:25]
	v_mul_f64 v[12:13], v[64:65], s[40:41]
	v_fma_f64 v[36:37], s[16:17], v[56:57], v[40:41]
	v_fma_f64 v[16:17], s[34:35], v[56:57], v[14:15]
	v_fma_f64 v[14:15], v[58:59], s[8:9], -v[12:13]
	v_add_f64 v[36:37], v[36:37], v[96:97]
	v_fmac_f64_e32 v[38:39], s[16:17], v[58:59]
	v_add_f64 v[96:97], v[14:15], v[26:27]
	v_mul_f64 v[14:15], v[62:63], s[40:41]
	v_fmac_f64_e32 v[12:13], s[8:9], v[58:59]
	v_add_f64 v[18:19], v[6:7], v[10:11]
	v_add_f64 v[6:7], v[6:7], -v[10:11]
	v_add_f64 v[38:39], v[38:39], v[98:99]
	v_add_f64 v[20:21], v[16:17], v[20:21]
	v_fma_f64 v[16:17], s[8:9], v[56:57], v[14:15]
	v_add_f64 v[30:31], v[12:13], v[30:31]
	v_fma_f64 v[12:13], v[56:57], s[8:9], -v[14:15]
	v_add_f64 v[98:99], v[0:1], v[8:9]
	v_add_f64 v[0:1], v[0:1], -v[8:9]
	v_mul_f64 v[10:11], v[6:7], s[36:37]
	v_fma_f64 v[40:41], v[56:57], s[16:17], -v[40:41]
	v_add_f64 v[28:29], v[16:17], v[28:29]
	v_add_f64 v[16:17], v[12:13], v[32:33]
	v_fma_f64 v[8:9], v[98:99], s[34:35], -v[10:11]
	v_mul_f64 v[12:13], v[0:1], s[36:37]
	v_fmac_f64_e32 v[10:11], s[34:35], v[98:99]
	v_add_f64 v[40:41], v[40:41], v[100:101]
	v_add_f64 v[56:57], v[10:11], v[38:39]
	v_fma_f64 v[10:11], v[18:19], s[34:35], -v[12:13]
	v_mul_f64 v[14:15], v[6:7], s[38:39]
	v_add_f64 v[58:59], v[10:11], v[40:41]
	v_fma_f64 v[10:11], v[98:99], s[20:21], -v[14:15]
	v_mul_f64 v[24:25], v[0:1], s[38:39]
	v_fmac_f64_e32 v[14:15], s[20:21], v[98:99]
	v_add_f64 v[50:51], v[50:51], v[106:107]
	v_add_f64 v[100:101], v[8:9], v[34:35]
	v_fma_f64 v[8:9], s[34:35], v[18:19], v[12:13]
	v_fma_f64 v[12:13], s[20:21], v[18:19], v[24:25]
	v_add_f64 v[62:63], v[14:15], v[48:49]
	v_fma_f64 v[14:15], v[18:19], s[20:21], -v[24:25]
	v_mul_f64 v[24:25], v[6:7], s[22:23]
	v_add_f64 v[64:65], v[14:15], v[50:51]
	v_fma_f64 v[14:15], v[98:99], s[16:17], -v[24:25]
	v_mul_f64 v[26:27], v[0:1], s[22:23]
	v_fmac_f64_e32 v[24:25], s[16:17], v[98:99]
	v_mul_f64 v[34:35], v[6:7], s[40:41]
	v_fma_f64 v[32:33], s[16:17], v[18:19], v[26:27]
	v_add_f64 v[66:67], v[24:25], v[66:67]
	v_fma_f64 v[24:25], v[98:99], s[8:9], -v[34:35]
	v_fmac_f64_e32 v[34:35], s[8:9], v[98:99]
	v_add_f64 v[42:43], v[42:43], v[102:103]
	v_add_f64 v[8:9], v[8:9], v[36:37]
	;; [unrolled: 1-line block ×4, first 2 shown]
	v_mul_f64 v[32:33], v[0:1], s[40:41]
	v_add_f64 v[68:69], v[34:35], v[22:23]
	v_mul_f64 v[34:35], v[0:1], s[18:19]
	v_add_f64 v[10:11], v[10:11], v[42:43]
	v_fma_f64 v[38:39], s[8:9], v[18:19], v[32:33]
	v_fma_f64 v[0:1], s[14:15], v[18:19], v[34:35]
	s_waitcnt vmcnt(1)
	v_mul_f64 v[42:43], v[72:73], v[78:79]
	v_add_f64 v[20:21], v[38:39], v[20:21]
	v_add_f64 v[28:29], v[0:1], v[28:29]
	v_mul_f64 v[0:1], v[74:75], v[78:79]
	v_fmac_f64_e32 v[42:43], v[74:75], v[76:77]
	v_add_u32_e32 v38, 11, v54
	v_add_f64 v[12:13], v[12:13], v[46:47]
	v_fma_f64 v[0:1], v[72:73], v[76:77], -v[0:1]
	v_mul_lo_u32 v48, v44, v38
	s_waitcnt vmcnt(0)
	v_mul_f64 v[46:47], v[42:43], v[82:83]
	v_fma_f64 v[50:51], v[80:81], v[0:1], -v[46:47]
	v_mul_f64 v[76:77], v[0:1], v[82:83]
	v_bfe_u32 v0, v48, 8, 8
	v_lshlrev_b32_sdwa v38, v94, v48 dst_sel:DWORD dst_unused:UNUSED_PAD src0_sel:DWORD src1_sel:BYTE_0
	v_fmac_f64_e32 v[76:77], v[80:81], v[42:43]
	v_lshl_or_b32 v42, v0, 4, v45
	global_load_dwordx4 v[38:41], v38, s[12:13]
	v_bfe_u32 v43, v48, 16, 8
	global_load_dwordx4 v[46:49], v42, s[12:13]
	v_lshl_or_b32 v42, v43, 4, v93
	global_load_dwordx4 v[72:75], v42, s[12:13]
	v_add_u32_e32 v42, 22, v54
	v_mul_lo_u32 v42, v44, v42
	v_mul_f64 v[0:1], v[4:5], v[76:77]
	v_lshlrev_b32_sdwa v43, v94, v42 dst_sel:DWORD dst_unused:UNUSED_PAD src0_sel:DWORD src1_sel:BYTE_0
	v_bfe_u32 v78, v42, 8, 8
	v_fma_f64 v[0:1], v[2:3], v[50:51], -v[0:1]
	v_lshl_or_b32 v84, v78, 4, v45
	v_mul_f64 v[2:3], v[2:3], v[76:77]
	global_load_dwordx4 v[76:79], v43, s[12:13]
	global_load_dwordx4 v[80:83], v84, s[12:13]
	v_bfe_u32 v42, v42, 16, 8
	v_lshl_or_b32 v42, v42, 4, v93
	v_add_f64 v[24:25], v[24:25], v[86:87]
	global_load_dwordx4 v[84:87], v42, s[12:13]
	v_mul_f64 v[6:7], v[6:7], s[18:19]
	v_fma_f64 v[22:23], v[98:99], s[14:15], -v[6:7]
	v_fmac_f64_e32 v[6:7], s[14:15], v[98:99]
	v_add_f64 v[30:31], v[6:7], v[30:31]
	v_fmac_f64_e32 v[2:3], v[4:5], v[50:51]
	v_add_f64 v[22:23], v[22:23], v[96:97]
	s_waitcnt vmcnt(4)
	v_mul_f64 v[6:7], v[38:39], v[48:49]
	v_mul_f64 v[4:5], v[40:41], v[48:49]
	v_fmac_f64_e32 v[6:7], v[40:41], v[46:47]
	v_fma_f64 v[4:5], v[38:39], v[46:47], -v[4:5]
	s_waitcnt vmcnt(3)
	v_mul_f64 v[38:39], v[6:7], v[74:75]
	v_fma_f64 v[42:43], v[72:73], v[4:5], -v[38:39]
	v_mul_f64 v[38:39], v[4:5], v[74:75]
	v_fmac_f64_e32 v[38:39], v[72:73], v[6:7]
	v_mul_f64 v[4:5], v[8:9], v[38:39]
	v_mul_f64 v[6:7], v[100:101], v[38:39]
	v_fmac_f64_e32 v[6:7], v[8:9], v[42:43]
	s_waitcnt vmcnt(1)
	v_mul_f64 v[38:39], v[78:79], v[82:83]
	v_fma_f64 v[50:51], v[76:77], v[80:81], -v[38:39]
	v_mul_f64 v[76:77], v[76:77], v[82:83]
	v_fmac_f64_e32 v[76:77], v[78:79], v[80:81]
	v_add_u32_e32 v38, 33, v54
	v_mul_lo_u32 v72, v44, v38
	s_waitcnt vmcnt(0)
	v_mul_f64 v[46:47], v[76:77], v[86:87]
	v_fma_f64 v[96:97], v[84:85], v[50:51], -v[46:47]
	v_bfe_u32 v46, v72, 8, 8
	v_lshlrev_b32_sdwa v38, v94, v72 dst_sel:DWORD dst_unused:UNUSED_PAD src0_sel:DWORD src1_sel:BYTE_0
	v_lshl_or_b32 v46, v46, 4, v45
	global_load_dwordx4 v[38:41], v38, s[12:13]
	v_bfe_u32 v72, v72, 16, 8
	global_load_dwordx4 v[46:49], v46, s[12:13]
	v_lshl_or_b32 v72, v72, 4, v93
	v_mul_f64 v[50:51], v[50:51], v[86:87]
	global_load_dwordx4 v[72:75], v72, s[12:13]
	v_fmac_f64_e32 v[50:51], v[84:85], v[76:77]
	v_add_u32_e32 v76, 44, v54
	v_mul_lo_u32 v84, v44, v76
	v_lshlrev_b32_sdwa v85, v94, v84 dst_sel:DWORD dst_unused:UNUSED_PAD src0_sel:DWORD src1_sel:BYTE_0
	v_bfe_u32 v76, v84, 8, 8
	v_lshl_or_b32 v86, v76, 4, v45
	global_load_dwordx4 v[76:79], v85, s[12:13]
	global_load_dwordx4 v[80:83], v86, s[12:13]
	v_mul_f64 v[8:9], v[12:13], v[50:51]
	v_fma_f64 v[8:9], v[10:11], v[96:97], -v[8:9]
	v_mul_f64 v[10:11], v[10:11], v[50:51]
	v_fmac_f64_e32 v[10:11], v[12:13], v[96:97]
	v_fma_f64 v[4:5], v[100:101], v[42:43], -v[4:5]
	v_bfe_u32 v42, v84, 16, 8
	v_lshl_or_b32 v86, v42, 4, v93
	s_waitcnt vmcnt(3)
	v_mul_f64 v[12:13], v[40:41], v[48:49]
	v_fma_f64 v[12:13], v[38:39], v[46:47], -v[12:13]
	v_mul_f64 v[38:39], v[38:39], v[48:49]
	v_fmac_f64_e32 v[38:39], v[40:41], v[46:47]
	s_waitcnt vmcnt(2)
	v_mul_f64 v[42:43], v[12:13], v[74:75]
	v_mul_f64 v[40:41], v[38:39], v[74:75]
	v_fmac_f64_e32 v[42:43], v[72:73], v[38:39]
	v_fma_f64 v[40:41], v[72:73], v[12:13], -v[40:41]
	v_mul_f64 v[12:13], v[36:37], v[42:43]
	v_fma_f64 v[12:13], v[14:15], v[40:41], -v[12:13]
	v_mul_f64 v[14:15], v[14:15], v[42:43]
	v_fmac_f64_e32 v[14:15], v[36:37], v[40:41]
	s_waitcnt vmcnt(0)
	v_mul_f64 v[36:37], v[78:79], v[82:83]
	v_fma_f64 v[50:51], v[76:77], v[80:81], -v[36:37]
	v_add_u32_e32 v36, 55, v54
	v_mul_lo_u32 v46, v44, v36
	v_bfe_u32 v47, v46, 8, 8
	v_mul_f64 v[84:85], v[76:77], v[82:83]
	global_load_dwordx4 v[36:39], v86, s[12:13]
	v_lshlrev_b32_sdwa v40, v94, v46 dst_sel:DWORD dst_unused:UNUSED_PAD src0_sel:DWORD src1_sel:BYTE_0
	global_load_dwordx4 v[40:43], v40, s[12:13]
	v_lshl_or_b32 v72, v47, 4, v45
	v_bfe_u32 v46, v46, 16, 8
	v_fmac_f64_e32 v[84:85], v[78:79], v[80:81]
	v_lshl_or_b32 v73, v46, 4, v93
	global_load_dwordx4 v[46:49], v72, s[12:13]
	global_load_dwordx4 v[76:79], v73, s[12:13]
	v_add_u32_e32 v72, 0x42, v54
	v_mul_lo_u32 v74, v44, v72
	v_bfe_u32 v73, v74, 8, 8
	v_lshlrev_b32_sdwa v72, v94, v74 dst_sel:DWORD dst_unused:UNUSED_PAD src0_sel:DWORD src1_sel:BYTE_0
	v_lshl_or_b32 v73, v73, 4, v45
	global_load_dwordx4 v[80:83], v72, s[12:13]
	global_load_dwordx4 v[96:99], v73, s[12:13]
	v_fma_f64 v[72:73], v[18:19], s[16:17], -v[26:27]
	v_bfe_u32 v26, v74, 16, 8
	v_lshl_or_b32 v26, v26, 4, v93
	v_fma_f64 v[86:87], v[18:19], s[8:9], -v[32:33]
	v_fma_f64 v[18:19], v[18:19], s[14:15], -v[34:35]
	global_load_dwordx4 v[32:35], v26, s[12:13]
	v_add_f64 v[74:75], v[18:19], v[16:17]
	v_add_f64 v[70:71], v[86:87], v[70:71]
	v_add_f64 v[60:61], v[72:73], v[60:61]
	s_waitcnt vmcnt(6)
	v_mul_f64 v[18:19], v[50:51], v[38:39]
	v_mul_f64 v[16:17], v[84:85], v[38:39]
	v_fmac_f64_e32 v[18:19], v[36:37], v[84:85]
	v_fma_f64 v[26:27], v[36:37], v[50:51], -v[16:17]
	v_mul_f64 v[16:17], v[20:21], v[18:19]
	v_fma_f64 v[16:17], v[24:25], v[26:27], -v[16:17]
	v_mul_f64 v[18:19], v[24:25], v[18:19]
	s_waitcnt vmcnt(4)
	v_mul_f64 v[24:25], v[42:43], v[48:49]
	v_mul_f64 v[36:37], v[40:41], v[48:49]
	v_fma_f64 v[24:25], v[40:41], v[46:47], -v[24:25]
	v_fmac_f64_e32 v[36:37], v[42:43], v[46:47]
	s_waitcnt vmcnt(3)
	v_mul_f64 v[38:39], v[36:37], v[78:79]
	v_mul_f64 v[78:79], v[24:25], v[78:79]
	s_waitcnt vmcnt(1)
	v_mul_f64 v[40:41], v[80:81], v[98:99]
	v_fma_f64 v[50:51], v[76:77], v[24:25], -v[38:39]
	v_fmac_f64_e32 v[78:79], v[76:77], v[36:37]
	v_mul_f64 v[24:25], v[82:83], v[98:99]
	v_fmac_f64_e32 v[40:41], v[82:83], v[96:97]
	v_add_u32_e32 v36, 0x4d, v54
	v_fma_f64 v[24:25], v[80:81], v[96:97], -v[24:25]
	v_mul_lo_u32 v46, v44, v36
	s_waitcnt vmcnt(0)
	v_mul_f64 v[42:43], v[40:41], v[34:35]
	v_fma_f64 v[76:77], v[32:33], v[24:25], -v[42:43]
	v_mul_f64 v[80:81], v[24:25], v[34:35]
	v_bfe_u32 v24, v46, 8, 8
	v_lshlrev_b32_sdwa v36, v94, v46 dst_sel:DWORD dst_unused:UNUSED_PAD src0_sel:DWORD src1_sel:BYTE_0
	v_lshl_or_b32 v24, v24, 4, v45
	v_bfe_u32 v25, v46, 16, 8
	global_load_dwordx4 v[36:39], v36, s[12:13]
	v_fmac_f64_e32 v[80:81], v[32:33], v[40:41]
	v_lshl_or_b32 v25, v25, 4, v93
	global_load_dwordx4 v[32:35], v24, s[12:13]
	global_load_dwordx4 v[46:49], v25, s[12:13]
	v_add_u32_e32 v24, 0x58, v54
	v_mul_lo_u32 v84, v44, v24
	v_lshlrev_b32_sdwa v24, v94, v84 dst_sel:DWORD dst_unused:UNUSED_PAD src0_sel:DWORD src1_sel:BYTE_0
	v_bfe_u32 v25, v84, 8, 8
	v_lshl_or_b32 v25, v25, 4, v45
	global_load_dwordx4 v[40:43], v24, s[12:13]
	global_load_dwordx4 v[96:99], v25, s[12:13]
	v_fmac_f64_e32 v[18:19], v[20:21], v[26:27]
	v_mul_f64 v[26:27], v[22:23], v[78:79]
	v_mul_f64 v[20:21], v[28:29], v[78:79]
	v_fmac_f64_e32 v[26:27], v[28:29], v[50:51]
	v_fma_f64 v[24:25], v[22:23], v[50:51], -v[20:21]
	v_mul_f64 v[20:21], v[74:75], v[80:81]
	v_mul_f64 v[22:23], v[30:31], v[80:81]
	v_fma_f64 v[20:21], v[30:31], v[76:77], -v[20:21]
	v_fmac_f64_e32 v[22:23], v[74:75], v[76:77]
	s_waitcnt vmcnt(3)
	v_mul_f64 v[100:101], v[36:37], v[34:35]
	v_mul_f64 v[28:29], v[38:39], v[34:35]
	v_fmac_f64_e32 v[100:101], v[38:39], v[32:33]
	v_fma_f64 v[50:51], v[36:37], v[32:33], -v[28:29]
	s_waitcnt vmcnt(2)
	v_mul_f64 v[28:29], v[100:101], v[48:49]
	v_fma_f64 v[78:79], v[46:47], v[50:51], -v[28:29]
	v_add_u32_e32 v32, 0x63, v54
	s_waitcnt vmcnt(0)
	v_mul_f64 v[28:29], v[42:43], v[98:99]
	v_fma_f64 v[80:81], v[40:41], v[96:97], -v[28:29]
	v_bfe_u32 v28, v84, 16, 8
	v_lshl_or_b32 v28, v28, 4, v93
	v_mul_f64 v[82:83], v[40:41], v[98:99]
	global_load_dwordx4 v[28:31], v28, s[12:13]
	v_mul_lo_u32 v40, v44, v32
	v_bfe_u32 v36, v40, 8, 8
	v_lshlrev_b32_sdwa v32, v94, v40 dst_sel:DWORD dst_unused:UNUSED_PAD src0_sel:DWORD src1_sel:BYTE_0
	global_load_dwordx4 v[32:35], v32, s[12:13]
	v_lshl_or_b32 v36, v36, 4, v45
	global_load_dwordx4 v[36:39], v36, s[12:13]
	v_bfe_u32 v40, v40, 16, 8
	v_lshl_or_b32 v40, v40, 4, v93
	v_fmac_f64_e32 v[82:83], v[42:43], v[96:97]
	global_load_dwordx4 v[40:43], v40, s[12:13]
	v_mul_f64 v[84:85], v[50:51], v[48:49]
	v_fmac_f64_e32 v[84:85], v[46:47], v[100:101]
	v_add_u32_e32 v46, 0x6e, v54
	v_mul_lo_u32 v95, v44, v46
	v_lshlrev_b32_sdwa v94, v94, v95 dst_sel:DWORD dst_unused:UNUSED_PAD src0_sel:DWORD src1_sel:BYTE_0
	v_bfe_u32 v44, v95, 8, 8
	v_lshl_or_b32 v96, v44, 4, v45
	global_load_dwordx4 v[44:47], v94, s[12:13]
	global_load_dwordx4 v[48:51], v96, s[12:13]
	v_bfe_u32 v86, v95, 16, 8
	v_lshl_or_b32 v86, v86, 4, v93
	global_load_dwordx4 v[94:97], v86, s[12:13]
	v_mul_f64 v[74:75], v[70:71], v[84:85]
	v_fma_f64 v[74:75], v[68:69], v[78:79], -v[74:75]
	v_mul_f64 v[76:77], v[68:69], v[84:85]
	v_fmac_f64_e32 v[76:77], v[70:71], v[78:79]
	s_barrier
	s_waitcnt vmcnt(6)
	v_mul_f64 v[68:69], v[82:83], v[30:31]
	v_mul_f64 v[30:31], v[80:81], v[30:31]
	v_fmac_f64_e32 v[30:31], v[28:29], v[82:83]
	v_fma_f64 v[68:69], v[28:29], v[80:81], -v[68:69]
	v_mul_f64 v[28:29], v[60:61], v[30:31]
	v_mul_f64 v[30:31], v[66:67], v[30:31]
	v_fmac_f64_e32 v[30:31], v[60:61], v[68:69]
	s_waitcnt vmcnt(4)
	v_mul_f64 v[60:61], v[34:35], v[38:39]
	v_fma_f64 v[60:61], v[32:33], v[36:37], -v[60:61]
	v_mul_f64 v[32:33], v[32:33], v[38:39]
	v_fmac_f64_e32 v[32:33], v[34:35], v[36:37]
	s_waitcnt vmcnt(3)
	v_mul_f64 v[34:35], v[32:33], v[42:43]
	v_fma_f64 v[36:37], v[40:41], v[60:61], -v[34:35]
	v_mul_f64 v[34:35], v[60:61], v[42:43]
	v_fmac_f64_e32 v[34:35], v[40:41], v[32:33]
	v_mul_f64 v[32:33], v[64:65], v[34:35]
	v_mul_f64 v[34:35], v[62:63], v[34:35]
	v_fma_f64 v[32:33], v[62:63], v[36:37], -v[32:33]
	v_fmac_f64_e32 v[34:35], v[64:65], v[36:37]
	s_waitcnt vmcnt(1)
	v_mul_f64 v[36:37], v[46:47], v[50:51]
	v_fma_f64 v[36:37], v[44:45], v[48:49], -v[36:37]
	v_mul_f64 v[38:39], v[44:45], v[50:51]
	v_fmac_f64_e32 v[38:39], v[46:47], v[48:49]
	s_waitcnt vmcnt(0)
	v_mul_f64 v[42:43], v[36:37], v[96:97]
	v_mul_f64 v[40:41], v[38:39], v[96:97]
	v_fmac_f64_e32 v[42:43], v[94:95], v[38:39]
	v_fma_f64 v[40:41], v[94:95], v[36:37], -v[40:41]
	v_mul_f64 v[36:37], v[58:59], v[42:43]
	v_mul_f64 v[38:39], v[56:57], v[42:43]
	v_fma_f64 v[28:29], v[66:67], v[68:69], -v[28:29]
	v_fma_f64 v[36:37], v[56:57], v[40:41], -v[36:37]
	v_fmac_f64_e32 v[38:39], v[58:59], v[40:41]
	ds_write_b128 v53, v[0:3]
	ds_write_b128 v53, v[4:7] offset:176
	ds_write_b128 v53, v[8:11] offset:352
	;; [unrolled: 1-line block ×10, first 2 shown]
	s_waitcnt lgkmcnt(0)
	s_barrier
	s_and_saveexec_b64 s[8:9], s[0:1]
	s_cbranch_execz .LBB0_16
; %bb.15:
	s_mul_i32 s0, s3, s26
	s_mul_hi_u32 s1, s2, s26
	s_add_i32 s1, s1, s0
	s_mul_i32 s0, s2, s26
	v_mad_u64_u32 v[4:5], s[2:3], s6, v54, 0
	v_mov_b32_e32 v0, v5
	v_mad_u64_u32 v[0:1], s[2:3], s7, v54, v[0:1]
	v_mad_u64_u32 v[6:7], s[2:3], s4, v52, 0
	v_mov_b32_e32 v5, v0
	v_mov_b32_e32 v0, v7
	v_mad_u64_u32 v[0:1], s[2:3], s5, v52, v[0:1]
	v_mov_b32_e32 v7, v0
	v_mul_u32_u24_e32 v0, 0x790, v54
	s_lshl_b64 s[0:1], s[0:1], 4
	v_add3_u32 v12, 0, v0, v92
	s_add_u32 s2, s10, s0
	s_addc_u32 s3, s11, s1
	s_lshl_b64 s[0:1], s[24:25], 4
	ds_read_b128 v[0:3], v12
	s_add_u32 s0, s2, s0
	s_addc_u32 s1, s3, s1
	v_lshl_add_u64 v[8:9], v[4:5], 4, s[0:1]
	v_lshl_add_u64 v[10:11], v[6:7], 4, v[8:9]
	ds_read_b128 v[4:7], v12 offset:176
	s_waitcnt lgkmcnt(1)
	global_store_dwordx4 v[10:11], v[0:3], off
	s_nop 1
	v_mad_u64_u32 v[0:1], s[0:1], s4, v91, 0
	v_mov_b32_e32 v2, v1
	v_mad_u64_u32 v[2:3], s[0:1], s5, v91, v[2:3]
	v_mov_b32_e32 v1, v2
	v_lshl_add_u64 v[0:1], v[0:1], 4, v[8:9]
	s_waitcnt lgkmcnt(0)
	global_store_dwordx4 v[0:1], v[4:7], off
	ds_read_b128 v[0:3], v12 offset:352
	s_nop 0
	v_mad_u64_u32 v[4:5], s[0:1], s4, v90, 0
	v_mov_b32_e32 v6, v5
	v_mad_u64_u32 v[6:7], s[0:1], s5, v90, v[6:7]
	v_mov_b32_e32 v5, v6
	v_lshl_add_u64 v[10:11], v[4:5], 4, v[8:9]
	ds_read_b128 v[4:7], v12 offset:528
	s_waitcnt lgkmcnt(1)
	global_store_dwordx4 v[10:11], v[0:3], off
	s_nop 1
	v_mad_u64_u32 v[0:1], s[0:1], s4, v89, 0
	v_mov_b32_e32 v2, v1
	v_mad_u64_u32 v[2:3], s[0:1], s5, v89, v[2:3]
	v_mov_b32_e32 v1, v2
	v_lshl_add_u64 v[0:1], v[0:1], 4, v[8:9]
	s_waitcnt lgkmcnt(0)
	global_store_dwordx4 v[0:1], v[4:7], off
	ds_read_b128 v[0:3], v12 offset:704
	s_nop 0
	v_mad_u64_u32 v[4:5], s[0:1], s4, v88, 0
	v_mov_b32_e32 v6, v5
	v_mad_u64_u32 v[6:7], s[0:1], s5, v88, v[6:7]
	v_mov_b32_e32 v5, v6
	v_lshl_add_u64 v[10:11], v[4:5], 4, v[8:9]
	ds_read_b128 v[4:7], v12 offset:880
	s_waitcnt lgkmcnt(1)
	global_store_dwordx4 v[10:11], v[0:3], off
	s_nop 1
	v_mad_u64_u32 v[0:1], s[0:1], s4, v55, 0
	v_mov_b32_e32 v2, v1
	v_mad_u64_u32 v[2:3], s[0:1], s5, v55, v[2:3]
	v_mov_b32_e32 v1, v2
	v_lshl_add_u64 v[0:1], v[0:1], 4, v[8:9]
	s_waitcnt lgkmcnt(0)
	global_store_dwordx4 v[0:1], v[4:7], off
	ds_read_b128 v[0:3], v12 offset:1056
	s_nop 0
	v_add_u32_e32 v7, 0x42, v52
	v_mad_u64_u32 v[4:5], s[0:1], s4, v7, 0
	v_mov_b32_e32 v6, v5
	v_mad_u64_u32 v[6:7], s[0:1], s5, v7, v[6:7]
	v_mov_b32_e32 v5, v6
	v_lshl_add_u64 v[10:11], v[4:5], 4, v[8:9]
	ds_read_b128 v[4:7], v12 offset:1232
	s_waitcnt lgkmcnt(1)
	global_store_dwordx4 v[10:11], v[0:3], off
	s_nop 1
	v_add_u32_e32 v3, 0x4d, v52
	v_mad_u64_u32 v[0:1], s[0:1], s4, v3, 0
	v_mov_b32_e32 v2, v1
	v_mad_u64_u32 v[2:3], s[0:1], s5, v3, v[2:3]
	v_mov_b32_e32 v1, v2
	v_lshl_add_u64 v[0:1], v[0:1], 4, v[8:9]
	s_waitcnt lgkmcnt(0)
	global_store_dwordx4 v[0:1], v[4:7], off
	ds_read_b128 v[0:3], v12 offset:1408
	s_nop 0
	v_add_u32_e32 v7, 0x58, v52
	v_mad_u64_u32 v[4:5], s[0:1], s4, v7, 0
	v_mov_b32_e32 v6, v5
	v_mad_u64_u32 v[6:7], s[0:1], s5, v7, v[6:7]
	v_mov_b32_e32 v5, v6
	v_lshl_add_u64 v[10:11], v[4:5], 4, v[8:9]
	ds_read_b128 v[4:7], v12 offset:1584
	s_waitcnt lgkmcnt(1)
	global_store_dwordx4 v[10:11], v[0:3], off
	s_nop 1
	v_add_u32_e32 v3, 0x63, v52
	v_mad_u64_u32 v[0:1], s[0:1], s4, v3, 0
	v_mov_b32_e32 v2, v1
	v_mad_u64_u32 v[2:3], s[0:1], s5, v3, v[2:3]
	v_mov_b32_e32 v1, v2
	v_lshl_add_u64 v[0:1], v[0:1], 4, v[8:9]
	s_waitcnt lgkmcnt(0)
	global_store_dwordx4 v[0:1], v[4:7], off
	ds_read_b128 v[0:3], v12 offset:1760
	s_nop 0
	v_add_u32_e32 v7, 0x6e, v52
	v_mad_u64_u32 v[4:5], s[0:1], s4, v7, 0
	v_mov_b32_e32 v6, v5
	v_mad_u64_u32 v[6:7], s[0:1], s5, v7, v[6:7]
	v_mov_b32_e32 v5, v6
	v_lshl_add_u64 v[4:5], v[4:5], 4, v[8:9]
	s_waitcnt lgkmcnt(0)
	global_store_dwordx4 v[4:5], v[0:3], off
.LBB0_16:
	s_endpgm
	.section	.rodata,"a",@progbits
	.p2align	6, 0x0
	.amdhsa_kernel fft_rtc_fwd_len121_factors_11_11_wgs_121_tpt_11_dp_op_CI_CI_sbcc_twdbase8_3step
		.amdhsa_group_segment_fixed_size 0
		.amdhsa_private_segment_fixed_size 0
		.amdhsa_kernarg_size 112
		.amdhsa_user_sgpr_count 2
		.amdhsa_user_sgpr_dispatch_ptr 0
		.amdhsa_user_sgpr_queue_ptr 0
		.amdhsa_user_sgpr_kernarg_segment_ptr 1
		.amdhsa_user_sgpr_dispatch_id 0
		.amdhsa_user_sgpr_kernarg_preload_length 0
		.amdhsa_user_sgpr_kernarg_preload_offset 0
		.amdhsa_user_sgpr_private_segment_size 0
		.amdhsa_uses_dynamic_stack 0
		.amdhsa_enable_private_segment 0
		.amdhsa_system_sgpr_workgroup_id_x 1
		.amdhsa_system_sgpr_workgroup_id_y 0
		.amdhsa_system_sgpr_workgroup_id_z 0
		.amdhsa_system_sgpr_workgroup_info 0
		.amdhsa_system_vgpr_workitem_id 0
		.amdhsa_next_free_vgpr 108
		.amdhsa_next_free_sgpr 57
		.amdhsa_accum_offset 108
		.amdhsa_reserve_vcc 1
		.amdhsa_float_round_mode_32 0
		.amdhsa_float_round_mode_16_64 0
		.amdhsa_float_denorm_mode_32 3
		.amdhsa_float_denorm_mode_16_64 3
		.amdhsa_dx10_clamp 1
		.amdhsa_ieee_mode 1
		.amdhsa_fp16_overflow 0
		.amdhsa_tg_split 0
		.amdhsa_exception_fp_ieee_invalid_op 0
		.amdhsa_exception_fp_denorm_src 0
		.amdhsa_exception_fp_ieee_div_zero 0
		.amdhsa_exception_fp_ieee_overflow 0
		.amdhsa_exception_fp_ieee_underflow 0
		.amdhsa_exception_fp_ieee_inexact 0
		.amdhsa_exception_int_div_zero 0
	.end_amdhsa_kernel
	.text
.Lfunc_end0:
	.size	fft_rtc_fwd_len121_factors_11_11_wgs_121_tpt_11_dp_op_CI_CI_sbcc_twdbase8_3step, .Lfunc_end0-fft_rtc_fwd_len121_factors_11_11_wgs_121_tpt_11_dp_op_CI_CI_sbcc_twdbase8_3step
                                        ; -- End function
	.section	.AMDGPU.csdata,"",@progbits
; Kernel info:
; codeLenInByte = 10876
; NumSgprs: 63
; NumVgprs: 108
; NumAgprs: 0
; TotalNumVgprs: 108
; ScratchSize: 0
; MemoryBound: 0
; FloatMode: 240
; IeeeMode: 1
; LDSByteSize: 0 bytes/workgroup (compile time only)
; SGPRBlocks: 7
; VGPRBlocks: 13
; NumSGPRsForWavesPerEU: 63
; NumVGPRsForWavesPerEU: 108
; AccumOffset: 108
; Occupancy: 4
; WaveLimiterHint : 1
; COMPUTE_PGM_RSRC2:SCRATCH_EN: 0
; COMPUTE_PGM_RSRC2:USER_SGPR: 2
; COMPUTE_PGM_RSRC2:TRAP_HANDLER: 0
; COMPUTE_PGM_RSRC2:TGID_X_EN: 1
; COMPUTE_PGM_RSRC2:TGID_Y_EN: 0
; COMPUTE_PGM_RSRC2:TGID_Z_EN: 0
; COMPUTE_PGM_RSRC2:TIDIG_COMP_CNT: 0
; COMPUTE_PGM_RSRC3_GFX90A:ACCUM_OFFSET: 26
; COMPUTE_PGM_RSRC3_GFX90A:TG_SPLIT: 0
	.text
	.p2alignl 6, 3212836864
	.fill 256, 4, 3212836864
	.type	__hip_cuid_1f1a3dc530bc8c6e,@object ; @__hip_cuid_1f1a3dc530bc8c6e
	.section	.bss,"aw",@nobits
	.globl	__hip_cuid_1f1a3dc530bc8c6e
__hip_cuid_1f1a3dc530bc8c6e:
	.byte	0                               ; 0x0
	.size	__hip_cuid_1f1a3dc530bc8c6e, 1

	.ident	"AMD clang version 19.0.0git (https://github.com/RadeonOpenCompute/llvm-project roc-6.4.0 25133 c7fe45cf4b819c5991fe208aaa96edf142730f1d)"
	.section	".note.GNU-stack","",@progbits
	.addrsig
	.addrsig_sym __hip_cuid_1f1a3dc530bc8c6e
	.amdgpu_metadata
---
amdhsa.kernels:
  - .agpr_count:     0
    .args:
      - .actual_access:  read_only
        .address_space:  global
        .offset:         0
        .size:           8
        .value_kind:     global_buffer
      - .address_space:  global
        .offset:         8
        .size:           8
        .value_kind:     global_buffer
      - .offset:         16
        .size:           8
        .value_kind:     by_value
      - .actual_access:  read_only
        .address_space:  global
        .offset:         24
        .size:           8
        .value_kind:     global_buffer
      - .actual_access:  read_only
        .address_space:  global
        .offset:         32
        .size:           8
        .value_kind:     global_buffer
      - .actual_access:  read_only
        .address_space:  global
        .offset:         40
        .size:           8
        .value_kind:     global_buffer
      - .offset:         48
        .size:           8
        .value_kind:     by_value
      - .actual_access:  read_only
        .address_space:  global
        .offset:         56
        .size:           8
        .value_kind:     global_buffer
      - .actual_access:  read_only
        .address_space:  global
        .offset:         64
        .size:           8
        .value_kind:     global_buffer
      - .offset:         72
        .size:           4
        .value_kind:     by_value
      - .actual_access:  read_only
        .address_space:  global
        .offset:         80
        .size:           8
        .value_kind:     global_buffer
      - .actual_access:  read_only
        .address_space:  global
        .offset:         88
        .size:           8
        .value_kind:     global_buffer
      - .actual_access:  read_only
        .address_space:  global
        .offset:         96
        .size:           8
        .value_kind:     global_buffer
      - .actual_access:  write_only
        .address_space:  global
        .offset:         104
        .size:           8
        .value_kind:     global_buffer
    .group_segment_fixed_size: 0
    .kernarg_segment_align: 8
    .kernarg_segment_size: 112
    .language:       OpenCL C
    .language_version:
      - 2
      - 0
    .max_flat_workgroup_size: 121
    .name:           fft_rtc_fwd_len121_factors_11_11_wgs_121_tpt_11_dp_op_CI_CI_sbcc_twdbase8_3step
    .private_segment_fixed_size: 0
    .sgpr_count:     63
    .sgpr_spill_count: 0
    .symbol:         fft_rtc_fwd_len121_factors_11_11_wgs_121_tpt_11_dp_op_CI_CI_sbcc_twdbase8_3step.kd
    .uniform_work_group_size: 1
    .uses_dynamic_stack: false
    .vgpr_count:     108
    .vgpr_spill_count: 0
    .wavefront_size: 64
amdhsa.target:   amdgcn-amd-amdhsa--gfx950
amdhsa.version:
  - 1
  - 2
...

	.end_amdgpu_metadata
